;; amdgpu-corpus repo=ROCm/rocFFT kind=compiled arch=gfx1030 opt=O3
	.text
	.amdgcn_target "amdgcn-amd-amdhsa--gfx1030"
	.amdhsa_code_object_version 6
	.protected	bluestein_single_fwd_len4050_dim1_dp_op_CI_CI ; -- Begin function bluestein_single_fwd_len4050_dim1_dp_op_CI_CI
	.globl	bluestein_single_fwd_len4050_dim1_dp_op_CI_CI
	.p2align	8
	.type	bluestein_single_fwd_len4050_dim1_dp_op_CI_CI,@function
bluestein_single_fwd_len4050_dim1_dp_op_CI_CI: ; @bluestein_single_fwd_len4050_dim1_dp_op_CI_CI
; %bb.0:
	s_load_dwordx4 s[16:19], s[4:5], 0x28
	v_mul_u32_u24_e32 v1, 0x1e6, v0
	s_mov_b64 s[38:39], s[2:3]
	s_mov_b64 s[36:37], s[0:1]
	v_mov_b32_e32 v3, 0
	s_add_u32 s36, s36, s7
	v_lshrrev_b32_e32 v1, 16, v1
	s_addc_u32 s37, s37, 0
	s_mov_b32 s0, exec_lo
	v_add_nc_u32_e32 v2, s6, v1
	s_waitcnt lgkmcnt(0)
	v_cmpx_gt_u64_e64 s[16:17], v[2:3]
	s_cbranch_execz .LBB0_2
; %bb.1:
	s_clause 0x1
	s_load_dwordx4 s[0:3], s[4:5], 0x18
	s_load_dwordx4 s[8:11], s[4:5], 0x0
	v_mov_b32_e32 v4, v2
	v_mul_lo_u16 v1, 0x87, v1
	s_mov_b32 s21, 0xbfee6f0e
	s_mov_b32 s17, 0xbfe2cf23
	;; [unrolled: 1-line block ×4, first 2 shown]
	v_sub_nc_u16 v144, v0, v1
	s_mov_b32 s25, 0xbfd3c6ef
	s_mov_b32 s27, 0xbfe9e377
	;; [unrolled: 1-line block ×3, first 2 shown]
	v_and_b32_e32 v6, 0xffff, v144
	s_waitcnt lgkmcnt(0)
	s_load_dwordx4 s[12:15], s[0:1], 0x0
	buffer_store_dword v4, off, s[36:39], 0 ; 4-byte Folded Spill
	buffer_store_dword v5, off, s[36:39], 0 offset:4 ; 4-byte Folded Spill
	s_waitcnt lgkmcnt(0)
	v_mad_u64_u32 v[0:1], null, s14, v2, 0
	v_mad_u64_u32 v[2:3], null, s12, v6, 0
	s_mul_hi_u32 s6, s12, 0x1950
	s_mul_i32 s1, s12, 0x1950
	s_mul_i32 s7, s13, 0xffff24a0
	s_sub_i32 s7, s7, s12
	v_mad_u64_u32 v[4:5], null, s15, v4, v[1:2]
	v_mov_b32_e32 v1, v6
	s_mov_b32 s14, 0x4755a5e
	s_mov_b32 s15, 0x3fe2cf23
	;; [unrolled: 1-line block ×3, first 2 shown]
	v_lshlrev_b32_e32 v52, 4, v1
	v_mad_u64_u32 v[5:6], null, s13, v1, v[3:4]
	v_mov_b32_e32 v142, v1
	v_mov_b32_e32 v1, v4
	v_add_co_u32 v143, s0, s8, v52
	v_add_co_ci_u32_e64 v182, null, s9, 0, s0
	v_mov_b32_e32 v3, v5
	v_lshlrev_b64 v[0:1], 4, v[0:1]
	v_add_co_u32 v8, vcc_lo, 0x1800, v143
	v_add_co_ci_u32_e32 v9, vcc_lo, 0, v182, vcc_lo
	v_lshlrev_b64 v[2:3], 4, v[2:3]
	v_add_co_u32 v0, vcc_lo, s18, v0
	v_add_co_ci_u32_e32 v1, vcc_lo, s19, v1, vcc_lo
	s_mul_i32 s0, s13, 0x1950
	v_add_co_u32 v0, vcc_lo, v0, v2
	v_add_co_ci_u32_e32 v1, vcc_lo, v1, v3, vcc_lo
	s_add_i32 s6, s6, s0
	v_add_co_u32 v10, vcc_lo, v0, s1
	v_add_co_ci_u32_e32 v11, vcc_lo, s6, v1, vcc_lo
	global_load_dwordx4 v[99:102], v52, s[8:9]
	global_load_dwordx4 v[4:7], v[0:1], off
	global_load_dwordx4 v[38:41], v[8:9], off offset:336
	global_load_dwordx4 v[0:3], v[10:11], off
	v_add_co_u32 v8, vcc_lo, 0x3000, v143
	v_add_co_u32 v16, s0, 0x4800, v143
	v_add_co_ci_u32_e32 v9, vcc_lo, 0, v182, vcc_lo
	v_add_co_ci_u32_e64 v17, vcc_lo, 0, v182, s0
	v_add_co_u32 v10, vcc_lo, v10, s1
	v_add_co_ci_u32_e32 v11, vcc_lo, s6, v11, vcc_lo
	global_load_dwordx4 v[83:86], v[8:9], off offset:672
	v_add_co_u32 v18, vcc_lo, v10, s1
	v_add_co_ci_u32_e32 v19, vcc_lo, s6, v11, vcc_lo
	global_load_dwordx4 v[12:15], v[10:11], off
	global_load_dwordx4 v[42:45], v[16:17], off offset:1008
	global_load_dwordx4 v[8:11], v[18:19], off
	v_add_co_u32 v16, vcc_lo, 0x6000, v143
	v_add_co_u32 v24, s0, 0x7800, v143
	v_add_co_ci_u32_e32 v17, vcc_lo, 0, v182, vcc_lo
	v_add_co_ci_u32_e64 v25, vcc_lo, 0, v182, s0
	v_add_co_u32 v18, vcc_lo, v18, s1
	v_add_co_ci_u32_e32 v19, vcc_lo, s6, v19, vcc_lo
	global_load_dwordx4 v[75:78], v[16:17], off offset:1344
	v_add_co_u32 v26, vcc_lo, v18, s1
	v_add_co_ci_u32_e32 v27, vcc_lo, s6, v19, vcc_lo
	;; [unrolled: 12-line block ×4, first 2 shown]
	global_load_dwordx4 v[48:51], v[36:37], off
	global_load_dwordx4 v[111:114], v[34:35], off offset:976
	global_load_dwordx4 v[53:56], v[32:33], off
	v_add_co_u32 v34, vcc_lo, 0x800, v143
	v_mad_u64_u32 v[32:33], null, 0xffff24a0, s12, v[32:33]
	v_add_co_u32 v36, s0, 0x2000, v143
	v_add_co_ci_u32_e32 v35, vcc_lo, 0, v182, vcc_lo
	v_add_co_ci_u32_e64 v37, vcc_lo, 0, v182, s0
	v_add_nc_u32_e32 v33, s7, v33
	v_add_co_u32 v65, vcc_lo, v32, s1
	global_load_dwordx4 v[107:110], v[34:35], off offset:112
	s_mov_b32 s18, 0x134454ff
	v_add_co_ci_u32_e32 v66, vcc_lo, s6, v33, vcc_lo
	global_load_dwordx4 v[57:60], v[32:33], off
	global_load_dwordx4 v[103:106], v[36:37], off offset:448
	global_load_dwordx4 v[61:64], v[65:66], off
	s_mov_b32 s19, 0x3fee6f0e
	s_mov_b32 s20, s18
	;; [unrolled: 1-line block ×4, first 2 shown]
	s_waitcnt vmcnt(23)
	buffer_store_dword v99, off, s[36:39], 0 offset:472 ; 4-byte Folded Spill
	buffer_store_dword v100, off, s[36:39], 0 offset:476 ; 4-byte Folded Spill
	;; [unrolled: 1-line block ×4, first 2 shown]
	s_waitcnt vmcnt(21)
	v_mov_b32_e32 v82, v41
	v_mov_b32_e32 v81, v40
	;; [unrolled: 1-line block ×4, first 2 shown]
	buffer_store_dword v79, off, s[36:39], 0 offset:456 ; 4-byte Folded Spill
	buffer_store_dword v80, off, s[36:39], 0 offset:460 ; 4-byte Folded Spill
	;; [unrolled: 1-line block ×4, first 2 shown]
	s_waitcnt vmcnt(19)
	buffer_store_dword v83, off, s[36:39], 0 offset:440 ; 4-byte Folded Spill
	buffer_store_dword v84, off, s[36:39], 0 offset:444 ; 4-byte Folded Spill
	;; [unrolled: 1-line block ×4, first 2 shown]
	s_waitcnt vmcnt(17)
	v_mov_b32_e32 v70, v45
	v_mov_b32_e32 v69, v44
	;; [unrolled: 1-line block ×4, first 2 shown]
	buffer_store_dword v67, off, s[36:39], 0 offset:424 ; 4-byte Folded Spill
	buffer_store_dword v68, off, s[36:39], 0 offset:428 ; 4-byte Folded Spill
	buffer_store_dword v69, off, s[36:39], 0 offset:432 ; 4-byte Folded Spill
	buffer_store_dword v70, off, s[36:39], 0 offset:436 ; 4-byte Folded Spill
	s_waitcnt vmcnt(15)
	buffer_store_dword v75, off, s[36:39], 0 offset:408 ; 4-byte Folded Spill
	buffer_store_dword v76, off, s[36:39], 0 offset:412 ; 4-byte Folded Spill
	buffer_store_dword v77, off, s[36:39], 0 offset:416 ; 4-byte Folded Spill
	buffer_store_dword v78, off, s[36:39], 0 offset:420 ; 4-byte Folded Spill
	s_waitcnt vmcnt(13)
	;; [unrolled: 5-line block ×6, first 2 shown]
	buffer_store_dword v111, off, s[36:39], 0 offset:328 ; 4-byte Folded Spill
	buffer_store_dword v112, off, s[36:39], 0 offset:332 ; 4-byte Folded Spill
	buffer_store_dword v113, off, s[36:39], 0 offset:336 ; 4-byte Folded Spill
	buffer_store_dword v114, off, s[36:39], 0 offset:340 ; 4-byte Folded Spill
	v_mul_f64 v[32:33], v[6:7], v[101:102]
	v_mul_f64 v[34:35], v[4:5], v[101:102]
	;; [unrolled: 1-line block ×5, first 2 shown]
	v_fma_f64 v[32:33], v[4:5], v[99:100], v[32:33]
	v_fma_f64 v[34:35], v[6:7], v[99:100], -v[34:35]
	v_mul_f64 v[4:5], v[12:13], v[85:86]
	v_mul_f64 v[6:7], v[10:11], v[69:70]
	v_fma_f64 v[36:37], v[0:1], v[79:80], v[36:37]
	v_mul_f64 v[0:1], v[8:9], v[69:70]
	v_fma_f64 v[38:39], v[2:3], v[79:80], -v[38:39]
	v_mul_f64 v[2:3], v[22:23], v[77:78]
	v_fma_f64 v[40:41], v[12:13], v[83:84], v[40:41]
	v_mul_f64 v[12:13], v[18:19], v[73:74]
	v_fma_f64 v[42:43], v[14:15], v[83:84], -v[4:5]
	;; [unrolled: 4-line block ×3, first 2 shown]
	v_mul_f64 v[0:1], v[16:17], v[73:74]
	v_fma_f64 v[20:21], v[20:21], v[75:76], v[2:3]
	v_mul_f64 v[2:3], v[28:29], v[93:94]
	v_mul_f64 v[8:9], v[24:25], v[89:90]
	v_fma_f64 v[16:17], v[16:17], v[71:72], v[12:13]
	v_fma_f64 v[22:23], v[22:23], v[75:76], -v[4:5]
	v_mul_f64 v[4:5], v[26:27], v[89:90]
	v_mul_f64 v[10:11], v[50:51], v[97:98]
	;; [unrolled: 1-line block ×3, first 2 shown]
	v_fma_f64 v[18:19], v[18:19], v[71:72], -v[0:1]
	v_fma_f64 v[0:1], v[28:29], v[91:92], v[6:7]
	s_waitcnt vmcnt(2)
	v_mul_f64 v[28:29], v[57:58], v[109:110]
	v_fma_f64 v[6:7], v[26:27], v[87:88], -v[8:9]
	v_mul_f64 v[26:27], v[59:60], v[109:110]
	buffer_store_dword v107, off, s[36:39], 0 offset:232 ; 4-byte Folded Spill
	buffer_store_dword v108, off, s[36:39], 0 offset:236 ; 4-byte Folded Spill
	;; [unrolled: 1-line block ×4, first 2 shown]
	v_mul_f64 v[14:15], v[55:56], v[113:114]
	v_fma_f64 v[2:3], v[30:31], v[91:92], -v[2:3]
	s_waitcnt vmcnt(0)
	v_mul_f64 v[30:31], v[63:64], v[105:106]
	v_fma_f64 v[4:5], v[24:25], v[87:88], v[4:5]
	v_mul_f64 v[24:25], v[53:54], v[113:114]
	v_fma_f64 v[8:9], v[48:49], v[95:96], v[10:11]
	v_fma_f64 v[10:11], v[50:51], v[95:96], -v[12:13]
	v_add_co_u32 v50, vcc_lo, 0x3800, v143
	v_add_co_ci_u32_e32 v51, vcc_lo, 0, v182, vcc_lo
	v_mul_f64 v[48:49], v[61:62], v[105:106]
	v_fma_f64 v[12:13], v[53:54], v[111:112], v[14:15]
	v_add_co_u32 v53, vcc_lo, v65, s1
	v_add_co_ci_u32_e32 v54, vcc_lo, s6, v66, vcc_lo
	v_fma_f64 v[14:15], v[55:56], v[111:112], -v[24:25]
	v_fma_f64 v[24:25], v[57:58], v[107:108], v[26:27]
	global_load_dwordx4 v[55:58], v[50:51], off offset:784
	buffer_store_dword v103, off, s[36:39], 0 offset:200 ; 4-byte Folded Spill
	buffer_store_dword v104, off, s[36:39], 0 offset:204 ; 4-byte Folded Spill
	;; [unrolled: 1-line block ×4, first 2 shown]
	v_fma_f64 v[26:27], v[59:60], v[107:108], -v[28:29]
	v_fma_f64 v[28:29], v[61:62], v[103:104], v[30:31]
	v_fma_f64 v[30:31], v[63:64], v[103:104], -v[48:49]
	s_waitcnt vmcnt(0)
	v_mov_b32_e32 v62, v58
	v_mov_b32_e32 v61, v57
	;; [unrolled: 1-line block ×4, first 2 shown]
	global_load_dwordx4 v[48:51], v[53:54], off
	buffer_store_dword v59, off, s[36:39], 0 offset:216 ; 4-byte Folded Spill
	buffer_store_dword v60, off, s[36:39], 0 offset:220 ; 4-byte Folded Spill
	;; [unrolled: 1-line block ×4, first 2 shown]
	s_waitcnt vmcnt(0)
	v_mul_f64 v[55:56], v[50:51], v[61:62]
	v_mul_f64 v[57:58], v[48:49], v[61:62]
	v_fma_f64 v[48:49], v[48:49], v[59:60], v[55:56]
	v_add_co_u32 v55, vcc_lo, 0x5000, v143
	v_add_co_ci_u32_e32 v56, vcc_lo, 0, v182, vcc_lo
	v_fma_f64 v[50:51], v[50:51], v[59:60], -v[57:58]
	v_add_co_u32 v57, vcc_lo, v53, s1
	global_load_dwordx4 v[63:66], v[55:56], off offset:1120
	v_add_co_ci_u32_e32 v58, vcc_lo, s6, v54, vcc_lo
	s_waitcnt vmcnt(0)
	buffer_store_dword v63, off, s[36:39], 0 offset:248 ; 4-byte Folded Spill
	buffer_store_dword v64, off, s[36:39], 0 offset:252 ; 4-byte Folded Spill
	buffer_store_dword v65, off, s[36:39], 0 offset:256 ; 4-byte Folded Spill
	buffer_store_dword v66, off, s[36:39], 0 offset:260 ; 4-byte Folded Spill
	global_load_dwordx4 v[53:56], v[57:58], off
	s_waitcnt vmcnt(0)
	v_mul_f64 v[61:62], v[53:54], v[65:66]
	v_mul_f64 v[59:60], v[55:56], v[65:66]
	v_fma_f64 v[55:56], v[55:56], v[63:64], -v[61:62]
	v_add_co_u32 v61, vcc_lo, v57, s1
	v_add_co_ci_u32_e32 v62, vcc_lo, s6, v58, vcc_lo
	v_add_co_u32 v57, vcc_lo, 0x6800, v143
	v_add_co_ci_u32_e32 v58, vcc_lo, 0, v182, vcc_lo
	global_load_dwordx4 v[67:70], v[57:58], off offset:1456
	v_fma_f64 v[53:54], v[53:54], v[63:64], v[59:60]
	s_waitcnt vmcnt(0)
	buffer_store_dword v67, off, s[36:39], 0 offset:280 ; 4-byte Folded Spill
	buffer_store_dword v68, off, s[36:39], 0 offset:284 ; 4-byte Folded Spill
	buffer_store_dword v69, off, s[36:39], 0 offset:288 ; 4-byte Folded Spill
	buffer_store_dword v70, off, s[36:39], 0 offset:292 ; 4-byte Folded Spill
	global_load_dwordx4 v[57:60], v[61:62], off
	s_waitcnt vmcnt(0)
	v_mul_f64 v[65:66], v[57:58], v[69:70]
	v_mul_f64 v[63:64], v[59:60], v[69:70]
	v_fma_f64 v[59:60], v[59:60], v[67:68], -v[65:66]
	v_add_co_u32 v65, vcc_lo, v61, s1
	v_add_co_ci_u32_e32 v66, vcc_lo, s6, v62, vcc_lo
	v_add_co_u32 v61, vcc_lo, 0x8000, v143
	v_add_co_ci_u32_e32 v62, vcc_lo, 0, v182, vcc_lo
	global_load_dwordx4 v[71:74], v[61:62], off offset:1792
	v_fma_f64 v[57:58], v[57:58], v[67:68], v[63:64]
	;; [unrolled: 16-line block ×6, first 2 shown]
	s_waitcnt vmcnt(0)
	buffer_store_dword v87, off, s[36:39], 0 offset:168 ; 4-byte Folded Spill
	buffer_store_dword v88, off, s[36:39], 0 offset:172 ; 4-byte Folded Spill
	;; [unrolled: 1-line block ×4, first 2 shown]
	global_load_dwordx4 v[77:80], v[81:82], off
	s_waitcnt vmcnt(0)
	v_mul_f64 v[85:86], v[77:78], v[89:90]
	v_mul_f64 v[83:84], v[79:80], v[89:90]
	v_fma_f64 v[79:80], v[79:80], v[87:88], -v[85:86]
	v_mad_u64_u32 v[85:86], null, 0xffff24a0, s12, v[81:82]
	v_add_co_u32 v81, vcc_lo, 0x1000, v143
	v_add_co_ci_u32_e32 v82, vcc_lo, 0, v182, vcc_lo
	s_mov_b32 s12, 0x372fe950
	s_mov_b32 s13, 0x3fd3c6ef
	v_add_nc_u32_e32 v86, s7, v86
	global_load_dwordx4 v[91:94], v[81:82], off offset:224
	v_fma_f64 v[77:78], v[77:78], v[87:88], v[83:84]
	s_mov_b32 s24, s12
	s_mov_b32 s7, 0xbfebb67a
	s_waitcnt vmcnt(0)
	buffer_store_dword v91, off, s[36:39], 0 offset:152 ; 4-byte Folded Spill
	buffer_store_dword v92, off, s[36:39], 0 offset:156 ; 4-byte Folded Spill
	buffer_store_dword v93, off, s[36:39], 0 offset:160 ; 4-byte Folded Spill
	buffer_store_dword v94, off, s[36:39], 0 offset:164 ; 4-byte Folded Spill
	global_load_dwordx4 v[81:84], v[85:86], off
	s_waitcnt vmcnt(0)
	v_mul_f64 v[89:90], v[81:82], v[93:94]
	v_mul_f64 v[87:88], v[83:84], v[93:94]
	v_fma_f64 v[83:84], v[83:84], v[91:92], -v[89:90]
	v_add_co_u32 v89, vcc_lo, v85, s1
	v_add_co_ci_u32_e32 v90, vcc_lo, s6, v86, vcc_lo
	v_add_co_u32 v85, vcc_lo, 0x2800, v143
	v_add_co_ci_u32_e32 v86, vcc_lo, 0, v182, vcc_lo
	global_load_dwordx4 v[95:98], v[85:86], off offset:560
	v_fma_f64 v[81:82], v[81:82], v[91:92], v[87:88]
	s_waitcnt vmcnt(0)
	buffer_store_dword v95, off, s[36:39], 0 offset:120 ; 4-byte Folded Spill
	buffer_store_dword v96, off, s[36:39], 0 offset:124 ; 4-byte Folded Spill
	buffer_store_dword v97, off, s[36:39], 0 offset:128 ; 4-byte Folded Spill
	buffer_store_dword v98, off, s[36:39], 0 offset:132 ; 4-byte Folded Spill
	global_load_dwordx4 v[85:88], v[89:90], off
	s_waitcnt vmcnt(0)
	v_mul_f64 v[93:94], v[85:86], v[97:98]
	v_mul_f64 v[91:92], v[87:88], v[97:98]
	v_fma_f64 v[87:88], v[87:88], v[95:96], -v[93:94]
	v_add_co_u32 v93, vcc_lo, v89, s1
	v_add_co_ci_u32_e32 v94, vcc_lo, s6, v90, vcc_lo
	v_add_co_u32 v89, vcc_lo, 0x4000, v143
	v_add_co_ci_u32_e32 v90, vcc_lo, 0, v182, vcc_lo
	global_load_dwordx4 v[99:102], v[89:90], off offset:896
	v_fma_f64 v[85:86], v[85:86], v[95:96], v[91:92]
	;; [unrolled: 16-line block ×8, first 2 shown]
	s_waitcnt vmcnt(0)
	buffer_store_dword v123, off, s[36:39], 0 offset:88 ; 4-byte Folded Spill
	buffer_store_dword v124, off, s[36:39], 0 offset:92 ; 4-byte Folded Spill
	;; [unrolled: 1-line block ×4, first 2 shown]
	global_load_dwordx4 v[113:116], v[117:118], off
	v_add_co_u32 v117, vcc_lo, v117, s1
	v_add_co_ci_u32_e32 v118, vcc_lo, s6, v118, vcc_lo
	s_waitcnt vmcnt(0)
	v_mul_f64 v[119:120], v[115:116], v[125:126]
	v_mul_f64 v[121:122], v[113:114], v[125:126]
	v_fma_f64 v[113:114], v[113:114], v[123:124], v[119:120]
	v_add_co_u32 v119, vcc_lo, 0xf000, v143
	v_add_co_ci_u32_e32 v120, vcc_lo, 0, v182, vcc_lo
	global_load_dwordx4 v[125:128], v[119:120], off offset:1200
	global_load_dwordx4 v[117:120], v[117:118], off
	v_fma_f64 v[115:116], v[115:116], v[123:124], -v[121:122]
	s_waitcnt vmcnt(1)
	buffer_store_dword v125, off, s[36:39], 0 offset:136 ; 4-byte Folded Spill
	buffer_store_dword v126, off, s[36:39], 0 offset:140 ; 4-byte Folded Spill
	;; [unrolled: 1-line block ×4, first 2 shown]
	s_waitcnt vmcnt(0)
	v_mul_f64 v[121:122], v[119:120], v[127:128]
	v_mul_f64 v[123:124], v[117:118], v[127:128]
	v_fma_f64 v[117:118], v[117:118], v[125:126], v[121:122]
	v_fma_f64 v[119:120], v[119:120], v[125:126], -v[123:124]
	ds_write_b128 v52, v[32:35]
	ds_write_b128 v52, v[36:39] offset:6480
	ds_write_b128 v52, v[40:43] offset:12960
	;; [unrolled: 1-line block ×29, first 2 shown]
	s_load_dwordx4 s[0:3], s[2:3], 0x0
	s_waitcnt lgkmcnt(0)
	s_waitcnt_vscnt null, 0x0
	s_barrier
	buffer_gl0_inv
	ds_read_b128 v[20:23], v52 offset:12960
	ds_read_b128 v[0:3], v52
	ds_read_b128 v[10:13], v52 offset:25920
	ds_read_b128 v[36:39], v52 offset:38880
	;; [unrolled: 1-line block ×3, first 2 shown]
	s_waitcnt lgkmcnt(3)
	v_add_f64 v[4:5], v[0:1], v[20:21]
	s_waitcnt lgkmcnt(2)
	v_add_f64 v[16:17], v[20:21], -v[10:11]
	v_add_f64 v[32:33], v[10:11], -v[20:21]
	s_waitcnt lgkmcnt(1)
	v_add_f64 v[26:27], v[10:11], -v[36:37]
	v_add_f64 v[24:25], v[12:13], -v[38:39]
	v_add_f64 v[8:9], v[12:13], v[38:39]
	v_add_f64 v[18:19], v[22:23], -v[12:13]
	v_add_f64 v[34:35], v[12:13], -v[22:23]
	s_waitcnt lgkmcnt(0)
	v_add_f64 v[28:29], v[22:23], -v[42:43]
	v_add_f64 v[30:31], v[20:21], -v[40:41]
	v_add_f64 v[14:15], v[22:23], v[42:43]
	v_add_f64 v[6:7], v[4:5], v[10:11]
	;; [unrolled: 1-line block ×3, first 2 shown]
	v_add_f64 v[22:23], v[42:43], -v[38:39]
	v_fma_f64 v[163:164], v[14:15], -0.5, v[2:3]
	v_add_f64 v[6:7], v[6:7], v[36:37]
	v_add_f64 v[44:45], v[4:5], v[12:13]
	;; [unrolled: 1-line block ×4, first 2 shown]
	v_add_f64 v[20:21], v[40:41], -v[36:37]
	v_add_f64 v[36:37], v[36:37], -v[40:41]
	v_add_f64 v[6:7], v[6:7], v[40:41]
	v_add_f64 v[10:11], v[44:45], v[38:39]
	v_add_f64 v[38:39], v[38:39], -v[42:43]
	v_add_f64 v[10:11], v[10:11], v[42:43]
	ds_read_b128 v[40:43], v52 offset:6480
	ds_read_b128 v[44:47], v52 offset:19440
	;; [unrolled: 1-line block ×3, first 2 shown]
	s_waitcnt lgkmcnt(1)
	v_add_f64 v[53:54], v[40:41], v[44:45]
	s_waitcnt lgkmcnt(0)
	v_add_f64 v[69:70], v[44:45], -v[48:49]
	v_add_f64 v[96:97], v[48:49], -v[44:45]
	;; [unrolled: 1-line block ×4, first 2 shown]
	v_add_f64 v[57:58], v[53:54], v[48:49]
	v_add_f64 v[53:54], v[42:43], v[46:47]
	;; [unrolled: 1-line block ×3, first 2 shown]
	ds_read_b128 v[53:56], v52 offset:45360
	s_waitcnt lgkmcnt(0)
	v_add_f64 v[65:66], v[48:49], v[53:54]
	v_add_f64 v[67:68], v[50:51], -v[55:56]
	v_add_f64 v[88:89], v[50:51], v[55:56]
	v_add_f64 v[98:99], v[48:49], -v[53:54]
	ds_read_b128 v[48:51], v52 offset:58320
	v_fma_f64 v[65:66], v[65:66], -0.5, v[40:41]
	s_waitcnt lgkmcnt(0)
	v_add_f64 v[104:105], v[46:47], -v[50:51]
	v_add_f64 v[90:91], v[44:45], v[48:49]
	v_add_f64 v[106:107], v[44:45], -v[48:49]
	v_add_f64 v[92:93], v[46:47], v[50:51]
	v_add_f64 v[44:45], v[57:58], v[53:54]
	;; [unrolled: 1-line block ×3, first 2 shown]
	v_add_f64 v[108:109], v[48:49], -v[53:54]
	v_add_f64 v[110:111], v[53:54], -v[48:49]
	;; [unrolled: 1-line block ×4, first 2 shown]
	v_fma_f64 v[173:174], v[88:89], -0.5, v[42:43]
	v_fma_f64 v[40:41], v[90:91], -0.5, v[40:41]
	;; [unrolled: 1-line block ×3, first 2 shown]
	v_add_f64 v[116:117], v[44:45], v[48:49]
	v_add_f64 v[118:119], v[46:47], v[50:51]
	ds_read_b128 v[44:47], v52 offset:2160
	ds_read_b128 v[48:51], v52 offset:15120
	;; [unrolled: 1-line block ×3, first 2 shown]
	v_add_f64 v[96:97], v[96:97], v[110:111]
	s_waitcnt lgkmcnt(1)
	v_add_f64 v[57:58], v[44:45], v[48:49]
	s_waitcnt lgkmcnt(0)
	v_add_f64 v[120:121], v[48:49], -v[53:54]
	v_add_f64 v[122:123], v[53:54], -v[48:49]
	;; [unrolled: 1-line block ×4, first 2 shown]
	v_add_f64 v[14:15], v[10:11], v[118:119]
	v_add_f64 v[10:11], v[10:11], -v[118:119]
	v_add_f64 v[61:62], v[57:58], v[53:54]
	v_add_f64 v[57:58], v[46:47], v[50:51]
	;; [unrolled: 1-line block ×3, first 2 shown]
	ds_read_b128 v[57:60], v52 offset:41040
	s_waitcnt lgkmcnt(0)
	v_add_f64 v[94:95], v[53:54], v[57:58]
	v_add_f64 v[72:73], v[55:56], -v[59:60]
	v_add_f64 v[124:125], v[55:56], v[59:60]
	v_add_f64 v[74:75], v[53:54], -v[57:58]
	ds_read_b128 v[53:56], v52 offset:54000
	v_fma_f64 v[88:89], v[94:95], -0.5, v[44:45]
	s_waitcnt lgkmcnt(0)
	v_add_f64 v[76:77], v[50:51], -v[55:56]
	v_add_f64 v[130:131], v[48:49], v[53:54]
	v_add_f64 v[78:79], v[48:49], -v[53:54]
	v_add_f64 v[132:133], v[50:51], v[55:56]
	v_add_f64 v[48:49], v[61:62], v[57:58]
	;; [unrolled: 1-line block ×3, first 2 shown]
	v_add_f64 v[134:135], v[53:54], -v[57:58]
	v_add_f64 v[136:137], v[57:58], -v[53:54]
	v_add_f64 v[138:139], v[55:56], -v[59:60]
	v_add_f64 v[140:141], v[59:60], -v[55:56]
	v_fma_f64 v[90:91], v[124:125], -0.5, v[46:47]
	v_fma_f64 v[130:131], v[130:131], -0.5, v[44:45]
	;; [unrolled: 1-line block ×3, first 2 shown]
	v_add_f64 v[145:146], v[48:49], v[53:54]
	v_add_f64 v[147:148], v[50:51], v[55:56]
	ds_read_b128 v[48:51], v52 offset:21600
	ds_read_b128 v[53:56], v52 offset:8640
	;; [unrolled: 1-line block ×3, first 2 shown]
	s_waitcnt lgkmcnt(1)
	v_add_f64 v[61:62], v[53:54], v[48:49]
	s_waitcnt lgkmcnt(0)
	v_add_f64 v[155:156], v[48:49], -v[57:58]
	v_add_f64 v[157:158], v[57:58], -v[48:49]
	;; [unrolled: 1-line block ×4, first 2 shown]
	v_add_f64 v[149:150], v[61:62], v[57:58]
	v_add_f64 v[61:62], v[55:56], v[50:51]
	v_add_f64 v[151:152], v[61:62], v[59:60]
	ds_read_b128 v[61:64], v52 offset:47520
	s_waitcnt lgkmcnt(0)
	v_add_f64 v[153:154], v[57:58], v[61:62]
	v_add_f64 v[80:81], v[59:60], -v[63:64]
	v_add_f64 v[159:160], v[59:60], v[63:64]
	v_add_f64 v[82:83], v[57:58], -v[61:62]
	ds_read_b128 v[57:60], v52 offset:60480
	v_fma_f64 v[94:95], v[153:154], -0.5, v[53:54]
	s_waitcnt lgkmcnt(0)
	v_add_f64 v[86:87], v[50:51], -v[59:60]
	v_add_f64 v[161:162], v[48:49], v[57:58]
	v_add_f64 v[84:85], v[48:49], -v[57:58]
	v_add_f64 v[48:49], v[50:51], v[59:60]
	v_add_f64 v[50:51], v[149:150], v[61:62]
	;; [unrolled: 1-line block ×3, first 2 shown]
	v_add_f64 v[151:152], v[57:58], -v[61:62]
	v_add_f64 v[61:62], v[61:62], -v[57:58]
	v_fma_f64 v[92:93], v[159:160], -0.5, v[55:56]
	v_add_f64 v[169:170], v[59:60], -v[63:64]
	v_add_f64 v[171:172], v[63:64], -v[59:60]
	v_fma_f64 v[63:64], v[12:13], -0.5, v[0:1]
	v_add_f64 v[12:13], v[6:7], v[116:117]
	v_fma_f64 v[53:54], v[161:162], -0.5, v[53:54]
	v_fma_f64 v[55:56], v[48:49], -0.5, v[55:56]
	v_add_f64 v[50:51], v[50:51], v[57:58]
	v_add_f64 v[57:58], v[149:150], v[59:60]
	;; [unrolled: 1-line block ×3, first 2 shown]
	v_fma_f64 v[16:17], v[104:105], s[18:19], v[65:66]
	v_fma_f64 v[59:60], v[4:5], -0.5, v[0:1]
	v_fma_f64 v[149:150], v[8:9], -0.5, v[2:3]
	v_add_f64 v[8:9], v[6:7], -v[116:117]
	v_add_f64 v[61:62], v[157:158], v[61:62]
	v_add_f64 v[4:5], v[145:146], v[50:51]
	;; [unrolled: 1-line block ×3, first 2 shown]
	v_add_f64 v[0:1], v[145:146], -v[50:51]
	v_add_f64 v[2:3], v[147:148], -v[57:58]
	v_add_f64 v[50:51], v[18:19], v[22:23]
	v_add_f64 v[57:58], v[69:70], v[108:109]
	v_fma_f64 v[16:17], v[67:68], s[14:15], v[16:17]
	v_fma_f64 v[18:19], v[106:107], s[20:21], v[173:174]
	v_add_f64 v[69:70], v[100:101], v[112:113]
	v_add_f64 v[100:101], v[102:103], v[114:115]
	v_fma_f64 v[16:17], v[57:58], s[12:13], v[16:17]
	v_fma_f64 v[18:19], v[98:99], s[16:17], v[18:19]
	v_mul_f64 v[20:21], v[16:17], s[22:23]
	v_fma_f64 v[18:19], v[69:70], s[12:13], v[18:19]
	v_mul_f64 v[16:17], v[16:17], s[16:17]
	v_fma_f64 v[44:45], v[18:19], s[14:15], v[20:21]
	v_fma_f64 v[18:19], v[18:19], s[22:23], v[16:17]
	;; [unrolled: 1-line block ×8, first 2 shown]
	v_add_f64 v[20:21], v[16:17], v[44:45]
	v_add_f64 v[16:17], v[16:17], -v[44:45]
	v_add_f64 v[44:45], v[32:33], v[36:37]
	v_fma_f64 v[32:33], v[98:99], s[18:19], v[42:43]
	v_add_f64 v[22:23], v[46:47], v[18:19]
	v_add_f64 v[18:19], v[46:47], -v[18:19]
	v_add_f64 v[46:47], v[34:35], v[38:39]
	v_fma_f64 v[34:35], v[67:68], s[20:21], v[40:41]
	v_fma_f64 v[40:41], v[67:68], s[18:19], v[40:41]
	;; [unrolled: 1-line block ×11, first 2 shown]
	v_add_f64 v[100:101], v[165:166], v[169:170]
	v_add_f64 v[96:97], v[120:121], v[134:135]
	v_mul_f64 v[36:37], v[32:33], s[18:19]
	v_fma_f64 v[102:103], v[34:35], s[12:13], v[36:37]
	v_mul_f64 v[34:35], v[34:35], s[20:21]
	v_fma_f64 v[36:37], v[26:27], s[18:19], v[163:164]
	v_fma_f64 v[34:35], v[32:33], s[12:13], v[34:35]
	;; [unrolled: 1-line block ×9, first 2 shown]
	v_add_f64 v[59:60], v[128:129], v[140:141]
	v_fma_f64 v[32:33], v[44:45], s[12:13], v[32:33]
	v_fma_f64 v[44:45], v[44:45], s[12:13], v[63:64]
	v_fma_f64 v[63:64], v[26:27], s[20:21], v[163:164]
	v_fma_f64 v[24:25], v[24:25], s[16:17], v[28:29]
	v_add_f64 v[38:39], v[108:109], v[34:35]
	v_add_f64 v[34:35], v[108:109], -v[34:35]
	v_add_f64 v[36:37], v[32:33], v[102:103]
	v_add_f64 v[32:33], v[32:33], -v[102:103]
	v_fma_f64 v[63:64], v[30:31], s[14:15], v[63:64]
	v_fma_f64 v[30:31], v[30:31], s[18:19], v[149:150]
	;; [unrolled: 1-line block ×3, first 2 shown]
	v_add_f64 v[102:103], v[155:156], v[151:152]
	v_fma_f64 v[46:47], v[46:47], s[12:13], v[63:64]
	v_mul_f64 v[63:64], v[40:41], s[24:25]
	v_fma_f64 v[26:27], v[26:27], s[14:15], v[30:31]
	v_fma_f64 v[63:64], v[42:43], s[18:19], v[63:64]
	v_mul_f64 v[42:43], v[42:43], s[24:25]
	v_fma_f64 v[26:27], v[50:51], s[12:13], v[26:27]
	v_add_f64 v[161:162], v[44:45], v[63:64]
	v_fma_f64 v[40:41], v[40:41], s[20:21], v[42:43]
	v_fma_f64 v[42:43], v[106:107], s[18:19], v[173:174]
	v_add_f64 v[44:45], v[44:45], -v[63:64]
	v_add_f64 v[163:164], v[46:47], v[40:41]
	v_add_f64 v[46:47], v[46:47], -v[40:41]
	v_fma_f64 v[40:41], v[104:105], s[20:21], v[65:66]
	v_fma_f64 v[28:29], v[98:99], s[14:15], v[42:43]
	v_add_f64 v[98:99], v[126:127], v[138:139]
	v_add_f64 v[104:105], v[167:168], v[171:172]
	v_fma_f64 v[40:41], v[67:68], s[16:17], v[40:41]
	v_fma_f64 v[28:29], v[69:70], s[12:13], v[28:29]
	v_fma_f64 v[30:31], v[57:58], s[12:13], v[40:41]
	v_add_f64 v[57:58], v[122:123], v[136:137]
	ds_read_b128 v[136:139], v52 offset:4320
	ds_read_b128 v[110:113], v52 offset:17280
	;; [unrolled: 1-line block ×4, first 2 shown]
	v_mul_f64 v[40:41], v[30:31], s[26:27]
	s_waitcnt lgkmcnt(0)
	v_add_f64 v[151:152], v[110:111], v[145:146]
	v_add_f64 v[153:154], v[112:113], v[147:148]
	v_add_f64 v[132:133], v[145:146], -v[120:121]
	v_add_f64 v[126:127], v[120:121], -v[145:146]
	;; [unrolled: 1-line block ×3, first 2 shown]
	v_fma_f64 v[40:41], v[28:29], s[14:15], v[40:41]
	v_mul_f64 v[28:29], v[28:29], s[26:27]
	v_add_f64 v[68:69], v[24:25], v[40:41]
	v_fma_f64 v[28:29], v[30:31], s[16:17], v[28:29]
	v_add_f64 v[64:65], v[24:25], -v[40:41]
	v_fma_f64 v[24:25], v[86:87], s[18:19], v[94:95]
	v_add_f64 v[70:71], v[26:27], v[28:29]
	v_add_f64 v[66:67], v[26:27], -v[28:29]
	v_fma_f64 v[24:25], v[80:81], s[14:15], v[24:25]
	v_fma_f64 v[26:27], v[84:85], s[20:21], v[92:93]
	;; [unrolled: 1-line block ×4, first 2 shown]
	v_mul_f64 v[28:29], v[24:25], s[22:23]
	v_fma_f64 v[26:27], v[100:101], s[12:13], v[26:27]
	v_mul_f64 v[24:25], v[24:25], s[16:17]
	v_fma_f64 v[40:41], v[26:27], s[14:15], v[28:29]
	v_fma_f64 v[26:27], v[26:27], s[22:23], v[24:25]
	;; [unrolled: 1-line block ×8, first 2 shown]
	v_add_f64 v[28:29], v[24:25], v[40:41]
	v_add_f64 v[24:25], v[24:25], -v[40:41]
	v_fma_f64 v[40:41], v[82:83], s[18:19], v[55:56]
	v_add_f64 v[30:31], v[42:43], v[26:27]
	v_add_f64 v[26:27], v[42:43], -v[26:27]
	v_fma_f64 v[42:43], v[80:81], s[20:21], v[53:54]
	v_fma_f64 v[53:54], v[80:81], s[18:19], v[53:54]
	;; [unrolled: 1-line block ×14, first 2 shown]
	v_mul_f64 v[48:49], v[40:41], s[18:19]
	v_fma_f64 v[106:107], v[42:43], s[12:13], v[48:49]
	v_mul_f64 v[42:43], v[42:43], s[20:21]
	v_fma_f64 v[48:49], v[74:75], s[18:19], v[124:125]
	v_fma_f64 v[42:43], v[40:41], s[12:13], v[42:43]
	;; [unrolled: 1-line block ×7, first 2 shown]
	v_add_f64 v[50:51], v[108:109], v[42:43]
	v_add_f64 v[42:43], v[108:109], -v[42:43]
	v_add_f64 v[48:49], v[40:41], v[106:107]
	v_add_f64 v[40:41], v[40:41], -v[106:107]
	v_fma_f64 v[106:107], v[72:73], s[18:19], v[130:131]
	v_add_f64 v[130:131], v[122:123], -v[147:148]
	v_fma_f64 v[106:107], v[76:77], s[16:17], v[106:107]
	v_fma_f64 v[76:77], v[76:77], s[20:21], v[88:89]
	v_fma_f64 v[57:58], v[57:58], s[12:13], v[106:107]
	v_fma_f64 v[106:107], v[74:75], s[20:21], v[124:125]
	v_fma_f64 v[72:73], v[72:73], s[16:17], v[76:77]
	v_fma_f64 v[76:77], v[82:83], s[14:15], v[84:85]
	v_fma_f64 v[106:107], v[78:79], s[14:15], v[106:107]
	v_fma_f64 v[78:79], v[78:79], s[18:19], v[90:91]
	v_fma_f64 v[106:107], v[59:60], s[12:13], v[106:107]
	v_mul_f64 v[59:60], v[53:54], s[24:25]
	v_fma_f64 v[74:75], v[74:75], s[14:15], v[78:79]
	v_fma_f64 v[78:79], v[102:103], s[12:13], v[80:81]
	;; [unrolled: 1-line block ×5, first 2 shown]
	v_mul_f64 v[55:56], v[55:56], s[24:25]
	v_fma_f64 v[82:83], v[98:99], s[12:13], v[74:75]
	v_mul_f64 v[74:75], v[78:79], s[26:27]
	v_add_f64 v[60:61], v[57:58], v[104:105]
	v_fma_f64 v[53:54], v[53:54], s[20:21], v[55:56]
	v_add_f64 v[56:57], v[57:58], -v[104:105]
	v_add_f64 v[104:105], v[138:139], v[112:113]
	v_fma_f64 v[76:77], v[72:73], s[14:15], v[74:75]
	v_mul_f64 v[72:73], v[72:73], s[26:27]
	v_add_f64 v[62:63], v[106:107], v[53:54]
	v_add_f64 v[58:59], v[106:107], -v[53:54]
	v_add_f64 v[53:54], v[136:137], v[110:111]
	ds_read_b128 v[106:109], v52 offset:30240
	v_fma_f64 v[84:85], v[78:79], s[16:17], v[72:73]
	v_add_f64 v[72:73], v[80:81], v[76:77]
	v_add_f64 v[79:80], v[80:81], -v[76:77]
	v_mov_b32_e32 v78, 4
	s_waitcnt lgkmcnt(0)
	v_add_f64 v[114:115], v[104:105], v[108:109]
	v_add_f64 v[53:54], v[53:54], v[106:107]
	v_add_f64 v[104:105], v[108:109], -v[122:123]
	v_add_f64 v[149:150], v[108:109], v[122:123]
	v_add_f64 v[128:129], v[112:113], -v[108:109]
	v_add_f64 v[118:119], v[108:109], -v[112:113]
	;; [unrolled: 1-line block ×3, first 2 shown]
	v_add_f64 v[140:141], v[106:107], v[120:121]
	v_add_f64 v[124:125], v[110:111], -v[106:107]
	v_add_f64 v[116:117], v[106:107], -v[110:111]
	;; [unrolled: 1-line block ×4, first 2 shown]
	v_add_f64 v[74:75], v[82:83], v[84:85]
	v_add_f64 v[81:82], v[82:83], -v[84:85]
	v_add_f64 v[112:113], v[114:115], v[122:123]
	v_add_f64 v[53:54], v[53:54], v[120:121]
	v_fma_f64 v[122:123], v[151:152], -0.5, v[136:137]
	v_fma_f64 v[114:115], v[149:150], -0.5, v[138:139]
	v_fma_f64 v[120:121], v[153:154], -0.5, v[138:139]
	v_add_f64 v[76:77], v[128:129], v[134:135]
	v_add_f64 v[165:166], v[112:113], v[147:148]
	;; [unrolled: 1-line block ×3, first 2 shown]
	ds_read_b128 v[145:148], v52 offset:10800
	ds_read_b128 v[149:152], v52 offset:23760
	v_fma_f64 v[112:113], v[140:141], -0.5, v[136:137]
	ds_read_b128 v[153:156], v52 offset:36720
	ds_read_b128 v[157:160], v52 offset:49680
	s_waitcnt lgkmcnt(2)
	v_add_f64 v[136:137], v[145:146], v[149:150]
	s_waitcnt lgkmcnt(1)
	v_add_f64 v[171:172], v[149:150], -v[153:154]
	s_waitcnt lgkmcnt(0)
	v_add_f64 v[169:170], v[153:154], v[157:158]
	v_add_f64 v[138:139], v[155:156], -v[159:160]
	v_add_f64 v[173:174], v[153:154], -v[149:150]
	v_add_f64 v[175:176], v[155:156], v[159:160]
	v_add_f64 v[177:178], v[151:152], -v[155:156]
	v_add_f64 v[179:180], v[155:156], -v[151:152]
	v_add_f64 v[140:141], v[136:137], v[153:154]
	v_add_f64 v[136:137], v[147:148], v[151:152]
	;; [unrolled: 1-line block ×4, first 2 shown]
	v_add_f64 v[136:137], v[153:154], -v[157:158]
	ds_read_b128 v[153:156], v52 offset:62640
	s_waitcnt lgkmcnt(0)
	s_barrier
	buffer_gl0_inv
	v_add_f64 v[167:168], v[167:168], v[159:160]
	v_add_f64 v[183:184], v[151:152], -v[155:156]
	v_add_f64 v[185:186], v[149:150], v[153:154]
	v_add_f64 v[149:150], v[149:150], -v[153:154]
	;; [unrolled: 2-line block ×3, first 2 shown]
	v_add_f64 v[157:158], v[157:158], -v[153:154]
	v_add_f64 v[189:190], v[155:156], -v[159:160]
	;; [unrolled: 1-line block ×3, first 2 shown]
	v_add_f64 v[140:141], v[140:141], v[153:154]
	v_add_f64 v[153:154], v[167:168], v[155:156]
	v_fma_f64 v[155:156], v[169:170], -0.5, v[145:146]
	v_fma_f64 v[167:168], v[175:176], -0.5, v[147:148]
	;; [unrolled: 1-line block ×4, first 2 shown]
	v_add_f64 v[128:129], v[171:172], v[187:188]
	v_add_f64 v[134:135], v[179:180], v[159:160]
	;; [unrolled: 1-line block ×3, first 2 shown]
	v_add_f64 v[87:88], v[53:54], -v[140:141]
	v_add_f64 v[53:54], v[124:125], v[132:133]
	v_add_f64 v[132:133], v[177:178], v[189:190]
	;; [unrolled: 1-line block ×6, first 2 shown]
	v_fma_f64 v[91:92], v[183:184], s[18:19], v[155:156]
	v_fma_f64 v[93:94], v[149:150], s[20:21], v[167:168]
	v_add_f64 v[89:90], v[165:166], -v[153:154]
	v_mov_b32_e32 v166, v142
	v_fma_f64 v[91:92], v[138:139], s[14:15], v[91:92]
	v_fma_f64 v[93:94], v[136:137], s[16:17], v[93:94]
	;; [unrolled: 1-line block ×4, first 2 shown]
	v_mul_f64 v[95:96], v[91:92], s[22:23]
	v_mul_f64 v[91:92], v[91:92], s[16:17]
	v_fma_f64 v[95:96], v[93:94], s[14:15], v[95:96]
	v_fma_f64 v[97:98], v[93:94], s[22:23], v[91:92]
	;; [unrolled: 1-line block ×8, first 2 shown]
	v_add_f64 v[91:92], v[99:100], v[95:96]
	v_add_f64 v[95:96], v[99:100], -v[95:96]
	v_fma_f64 v[99:100], v[136:137], s[18:19], v[147:148]
	v_add_f64 v[93:94], v[101:102], v[97:98]
	v_add_f64 v[97:98], v[101:102], -v[97:98]
	v_fma_f64 v[101:102], v[138:139], s[20:21], v[145:146]
	v_fma_f64 v[99:100], v[149:150], s[16:17], v[99:100]
	;; [unrolled: 1-line block ×5, first 2 shown]
	v_mul_f64 v[116:117], v[99:100], s[18:19]
	v_fma_f64 v[116:117], v[101:102], s[12:13], v[116:117]
	v_mul_f64 v[101:102], v[101:102], s[20:21]
	v_fma_f64 v[118:119], v[99:100], s[12:13], v[101:102]
	v_fma_f64 v[101:102], v[106:107], s[18:19], v[120:121]
	v_fma_f64 v[120:121], v[106:107], s[20:21], v[120:121]
	v_fma_f64 v[99:100], v[104:105], s[20:21], v[122:123]
	v_fma_f64 v[122:123], v[104:105], s[18:19], v[122:123]
	v_fma_f64 v[101:102], v[110:111], s[16:17], v[101:102]
	v_fma_f64 v[120:121], v[110:111], s[14:15], v[120:121]
	v_fma_f64 v[99:100], v[108:109], s[14:15], v[99:100]
	v_fma_f64 v[122:123], v[108:109], s[16:17], v[122:123]
	v_fma_f64 v[108:109], v[108:109], s[20:21], v[112:113]
	v_fma_f64 v[110:111], v[110:111], s[18:19], v[114:115]
	v_fma_f64 v[112:113], v[149:150], s[18:19], v[167:168]
	v_mov_b32_e32 v168, v166
	v_fma_f64 v[151:152], v[126:127], s[12:13], v[101:102]
	v_fma_f64 v[126:127], v[126:127], s[12:13], v[120:121]
	;; [unrolled: 1-line block ×9, first 2 shown]
	v_add_f64 v[101:102], v[151:152], v[118:119]
	v_add_f64 v[118:119], v[151:152], -v[118:119]
	v_fma_f64 v[120:121], v[183:184], s[16:17], v[120:121]
	v_add_f64 v[99:100], v[140:141], v[116:117]
	v_add_f64 v[116:117], v[140:141], -v[116:117]
	v_fma_f64 v[122:123], v[149:150], s[14:15], v[122:123]
	v_fma_f64 v[53:54], v[53:54], s[12:13], v[103:104]
	;; [unrolled: 1-line block ×6, first 2 shown]
	v_mul_f64 v[130:131], v[120:121], s[24:25]
	v_fma_f64 v[130:131], v[122:123], s[18:19], v[130:131]
	v_mul_f64 v[122:123], v[122:123], s[24:25]
	v_fma_f64 v[134:135], v[120:121], s[20:21], v[122:123]
	v_add_f64 v[120:121], v[124:125], v[130:131]
	v_add_f64 v[124:125], v[124:125], -v[130:131]
	v_fma_f64 v[130:131], v[183:184], s[20:21], v[155:156]
	v_add_f64 v[122:123], v[126:127], v[134:135]
	v_add_f64 v[126:127], v[126:127], -v[134:135]
	v_fma_f64 v[114:115], v[138:139], s[16:17], v[130:131]
	v_fma_f64 v[109:110], v[128:129], s[12:13], v[114:115]
	v_mul_f64 v[105:106], v[109:110], s[26:27]
	v_fma_f64 v[105:106], v[103:104], s[14:15], v[105:106]
	v_mul_f64 v[103:104], v[103:104], s[26:27]
	v_add_f64 v[107:108], v[53:54], v[105:106]
	v_fma_f64 v[103:104], v[109:110], s[16:17], v[103:104]
	v_add_f64 v[111:112], v[53:54], -v[105:106]
	v_mul_lo_u16 v53, v144, 10
	v_lshlrev_b32_sdwa v176, v78, v53 dst_sel:DWORD dst_unused:UNUSED_PAD src0_sel:DWORD src1_sel:WORD_0
	ds_write_b128 v176, v[12:15]
	ds_write_b128 v176, v[20:23] offset:16
	ds_write_b128 v176, v[36:39] offset:32
	;; [unrolled: 1-line block ×9, first 2 shown]
	v_add_co_u32 v8, s29, 0x87, v142
	v_add_co_u32 v12, null, 0x10e, v142
	v_mul_u32_u24_e32 v9, 10, v8
	v_add_f64 v[109:110], v[76:77], v[103:104]
	v_lshlrev_b32_e32 v187, 4, v9
	v_add_f64 v[113:114], v[76:77], -v[103:104]
	ds_write_b128 v187, v[4:7]
	ds_write_b128 v187, v[28:31] offset:16
	ds_write_b128 v187, v[48:51] offset:32
	;; [unrolled: 1-line block ×9, first 2 shown]
	v_mul_u32_u24_e32 v0, 10, v12
	v_add_co_u32 v76, s28, 0x195, v166
	v_add_co_u32 v75, null, 0x21c, v166
	v_lshlrev_b32_e32 v0, 4, v0
	v_add_co_u32 v51, null, 0x2a3, v166
	buffer_store_dword v0, off, s[36:39], 0 offset:1292 ; 4-byte Folded Spill
	ds_write_b128 v0, v[83:86]
	ds_write_b128 v0, v[91:94] offset:16
	ds_write_b128 v0, v[99:102] offset:32
	;; [unrolled: 1-line block ×9, first 2 shown]
	v_and_b32_e32 v0, 0xff, v144
	s_waitcnt lgkmcnt(0)
	s_waitcnt_vscnt null, 0x0
	s_barrier
	buffer_gl0_inv
	v_mul_lo_u16 v1, 0xcd, v0
	v_mul_lo_u16 v0, v0, 41
	v_lshrrev_b16 v1, 11, v1
	v_mul_lo_u16 v2, v1, 10
	v_sub_nc_u16 v2, v144, v2
	v_and_b32_e32 v2, 0xff, v2
	v_lshlrev_b32_e32 v7, 6, v2
	global_load_dwordx4 v[13:16], v7, s[10:11]
	s_waitcnt vmcnt(0)
	buffer_store_dword v13, off, s[36:39], 0 offset:1228 ; 4-byte Folded Spill
	buffer_store_dword v14, off, s[36:39], 0 offset:1232 ; 4-byte Folded Spill
	;; [unrolled: 1-line block ×4, first 2 shown]
	ds_read_b128 v[3:6], v52 offset:12960
	s_waitcnt lgkmcnt(0)
	v_mul_f64 v[9:10], v[5:6], v[15:16]
	v_fma_f64 v[9:10], v[3:4], v[13:14], -v[9:10]
	v_mul_f64 v[3:4], v[3:4], v[15:16]
	global_load_dwordx4 v[15:18], v7, s[10:11] offset:16
	s_waitcnt vmcnt(0)
	buffer_store_dword v15, off, s[36:39], 0 offset:1244 ; 4-byte Folded Spill
	buffer_store_dword v16, off, s[36:39], 0 offset:1248 ; 4-byte Folded Spill
	;; [unrolled: 1-line block ×4, first 2 shown]
	v_fma_f64 v[21:22], v[5:6], v[13:14], v[3:4]
	ds_read_b128 v[3:6], v52 offset:25920
	s_waitcnt lgkmcnt(0)
	v_mul_f64 v[13:14], v[5:6], v[17:18]
	v_fma_f64 v[23:24], v[3:4], v[15:16], -v[13:14]
	v_mul_f64 v[3:4], v[3:4], v[17:18]
	v_fma_f64 v[25:26], v[5:6], v[15:16], v[3:4]
	global_load_dwordx4 v[15:18], v7, s[10:11] offset:32
	s_waitcnt vmcnt(0)
	buffer_store_dword v15, off, s[36:39], 0 offset:1260 ; 4-byte Folded Spill
	buffer_store_dword v16, off, s[36:39], 0 offset:1264 ; 4-byte Folded Spill
	;; [unrolled: 1-line block ×4, first 2 shown]
	ds_read_b128 v[3:6], v52 offset:38880
	s_waitcnt lgkmcnt(0)
	v_mul_f64 v[13:14], v[5:6], v[17:18]
	v_fma_f64 v[27:28], v[3:4], v[15:16], -v[13:14]
	v_mul_f64 v[3:4], v[3:4], v[17:18]
	v_add_f64 v[63:64], v[23:24], -v[27:28]
	v_fma_f64 v[29:30], v[5:6], v[15:16], v[3:4]
	global_load_dwordx4 v[15:18], v7, s[10:11] offset:48
	v_mov_b32_e32 v7, 0xcccd
	s_waitcnt vmcnt(0)
	buffer_store_dword v15, off, s[36:39], 0 offset:1276 ; 4-byte Folded Spill
	buffer_store_dword v16, off, s[36:39], 0 offset:1280 ; 4-byte Folded Spill
	;; [unrolled: 1-line block ×4, first 2 shown]
	ds_read_b128 v[3:6], v52 offset:51840
	v_add_f64 v[59:60], v[25:26], -v[29:30]
	s_waitcnt lgkmcnt(0)
	v_mul_f64 v[13:14], v[5:6], v[17:18]
	v_fma_f64 v[31:32], v[3:4], v[15:16], -v[13:14]
	v_mul_f64 v[3:4], v[3:4], v[17:18]
	v_add_f64 v[61:62], v[9:10], -v[31:32]
	v_fma_f64 v[33:34], v[5:6], v[15:16], v[3:4]
	v_mul_u32_u24_sdwa v3, v8, v7 dst_sel:DWORD dst_unused:UNUSED_PAD src0_sel:WORD_0 src1_sel:DWORD
	v_lshrrev_b32_e32 v11, 19, v3
	v_mul_lo_u16 v3, v11, 10
	v_sub_nc_u16 v77, v8, v3
	v_lshlrev_b16 v3, 2, v77
	v_add_f64 v[39:40], v[21:22], -v[33:34]
	v_lshlrev_b32_sdwa v15, v78, v3 dst_sel:DWORD dst_unused:UNUSED_PAD src0_sel:DWORD src1_sel:WORD_0
	global_load_dwordx4 v[16:19], v15, s[10:11]
	s_waitcnt vmcnt(0)
	buffer_store_dword v16, off, s[36:39], 0 offset:1212 ; 4-byte Folded Spill
	buffer_store_dword v17, off, s[36:39], 0 offset:1216 ; 4-byte Folded Spill
	buffer_store_dword v18, off, s[36:39], 0 offset:1220 ; 4-byte Folded Spill
	buffer_store_dword v19, off, s[36:39], 0 offset:1224 ; 4-byte Folded Spill
	ds_read_b128 v[3:6], v52 offset:15120
	s_waitcnt lgkmcnt(0)
	v_mul_f64 v[13:14], v[5:6], v[18:19]
	v_fma_f64 v[41:42], v[3:4], v[16:17], -v[13:14]
	v_mul_f64 v[3:4], v[3:4], v[18:19]
	v_fma_f64 v[43:44], v[5:6], v[16:17], v[3:4]
	global_load_dwordx4 v[16:19], v15, s[10:11] offset:16
	s_waitcnt vmcnt(0)
	buffer_store_dword v16, off, s[36:39], 0 offset:1196 ; 4-byte Folded Spill
	buffer_store_dword v17, off, s[36:39], 0 offset:1200 ; 4-byte Folded Spill
	;; [unrolled: 1-line block ×4, first 2 shown]
	ds_read_b128 v[3:6], v52 offset:28080
	s_waitcnt lgkmcnt(0)
	v_mul_f64 v[13:14], v[5:6], v[18:19]
	v_fma_f64 v[45:46], v[3:4], v[16:17], -v[13:14]
	v_mul_f64 v[3:4], v[3:4], v[18:19]
	v_fma_f64 v[47:48], v[5:6], v[16:17], v[3:4]
	global_load_dwordx4 v[16:19], v15, s[10:11] offset:32
	s_waitcnt vmcnt(0)
	buffer_store_dword v16, off, s[36:39], 0 offset:1180 ; 4-byte Folded Spill
	buffer_store_dword v17, off, s[36:39], 0 offset:1184 ; 4-byte Folded Spill
	;; [unrolled: 1-line block ×4, first 2 shown]
	ds_read_b128 v[3:6], v52 offset:41040
	s_waitcnt lgkmcnt(0)
	v_mul_f64 v[13:14], v[5:6], v[18:19]
	v_fma_f64 v[49:50], v[3:4], v[16:17], -v[13:14]
	v_mul_f64 v[3:4], v[3:4], v[18:19]
	v_add_f64 v[87:88], v[45:46], -v[49:50]
	v_fma_f64 v[53:54], v[5:6], v[16:17], v[3:4]
	global_load_dwordx4 v[15:18], v15, s[10:11] offset:48
	s_waitcnt vmcnt(0)
	buffer_store_dword v15, off, s[36:39], 0 offset:1100 ; 4-byte Folded Spill
	buffer_store_dword v16, off, s[36:39], 0 offset:1104 ; 4-byte Folded Spill
	;; [unrolled: 1-line block ×4, first 2 shown]
	ds_read_b128 v[3:6], v52 offset:54000
	s_waitcnt lgkmcnt(0)
	v_mul_f64 v[13:14], v[5:6], v[17:18]
	v_fma_f64 v[55:56], v[3:4], v[15:16], -v[13:14]
	v_mul_f64 v[3:4], v[3:4], v[17:18]
	v_add_f64 v[85:86], v[41:42], -v[55:56]
	v_fma_f64 v[57:58], v[5:6], v[15:16], v[3:4]
	v_mul_u32_u24_sdwa v3, v12, v7 dst_sel:DWORD dst_unused:UNUSED_PAD src0_sel:WORD_0 src1_sel:DWORD
	v_lshrrev_b32_e32 v159, 19, v3
	v_mul_lo_u16 v3, v159, 10
	v_sub_nc_u16 v160, v12, v3
	v_lshlrev_b16 v3, 2, v160
	v_lshlrev_b32_sdwa v15, v78, v3 dst_sel:DWORD dst_unused:UNUSED_PAD src0_sel:DWORD src1_sel:WORD_0
	global_load_dwordx4 v[16:19], v15, s[10:11]
	s_waitcnt vmcnt(0)
	buffer_store_dword v16, off, s[36:39], 0 offset:1116 ; 4-byte Folded Spill
	buffer_store_dword v17, off, s[36:39], 0 offset:1120 ; 4-byte Folded Spill
	;; [unrolled: 1-line block ×4, first 2 shown]
	ds_read_b128 v[3:6], v52 offset:17280
	s_waitcnt lgkmcnt(0)
	v_mul_f64 v[13:14], v[5:6], v[18:19]
	v_fma_f64 v[65:66], v[3:4], v[16:17], -v[13:14]
	v_mul_f64 v[3:4], v[3:4], v[18:19]
	v_fma_f64 v[67:68], v[5:6], v[16:17], v[3:4]
	global_load_dwordx4 v[16:19], v15, s[10:11] offset:16
	s_waitcnt vmcnt(0)
	buffer_store_dword v16, off, s[36:39], 0 offset:1132 ; 4-byte Folded Spill
	buffer_store_dword v17, off, s[36:39], 0 offset:1136 ; 4-byte Folded Spill
	;; [unrolled: 1-line block ×4, first 2 shown]
	ds_read_b128 v[3:6], v52 offset:30240
	s_waitcnt lgkmcnt(0)
	v_mul_f64 v[13:14], v[5:6], v[18:19]
	v_fma_f64 v[69:70], v[3:4], v[16:17], -v[13:14]
	v_mul_f64 v[3:4], v[3:4], v[18:19]
	v_fma_f64 v[71:72], v[5:6], v[16:17], v[3:4]
	global_load_dwordx4 v[16:19], v15, s[10:11] offset:32
	s_waitcnt vmcnt(0)
	buffer_store_dword v16, off, s[36:39], 0 offset:1148 ; 4-byte Folded Spill
	buffer_store_dword v17, off, s[36:39], 0 offset:1152 ; 4-byte Folded Spill
	;; [unrolled: 1-line block ×4, first 2 shown]
	ds_read_b128 v[3:6], v52 offset:43200
	s_waitcnt lgkmcnt(0)
	v_mul_f64 v[13:14], v[5:6], v[18:19]
	v_fma_f64 v[73:74], v[3:4], v[16:17], -v[13:14]
	v_mul_f64 v[3:4], v[3:4], v[18:19]
	v_add_f64 v[107:108], v[69:70], -v[73:74]
	v_fma_f64 v[79:80], v[5:6], v[16:17], v[3:4]
	global_load_dwordx4 v[15:18], v15, s[10:11] offset:48
	s_waitcnt vmcnt(0)
	buffer_store_dword v15, off, s[36:39], 0 offset:1164 ; 4-byte Folded Spill
	buffer_store_dword v16, off, s[36:39], 0 offset:1168 ; 4-byte Folded Spill
	;; [unrolled: 1-line block ×4, first 2 shown]
	ds_read_b128 v[3:6], v52 offset:56160
	s_waitcnt lgkmcnt(0)
	v_mul_f64 v[13:14], v[5:6], v[17:18]
	v_fma_f64 v[81:82], v[3:4], v[15:16], -v[13:14]
	v_mul_f64 v[3:4], v[3:4], v[17:18]
	v_add_f64 v[89:90], v[65:66], -v[81:82]
	v_fma_f64 v[83:84], v[5:6], v[15:16], v[3:4]
	v_mul_u32_u24_sdwa v3, v76, v7 dst_sel:DWORD dst_unused:UNUSED_PAD src0_sel:WORD_0 src1_sel:DWORD
	v_lshrrev_b32_e32 v161, 19, v3
	v_mul_lo_u16 v3, v161, 10
	v_sub_nc_u16 v162, v76, v3
	v_lshlrev_b16 v3, 2, v162
	v_lshlrev_b32_sdwa v15, v78, v3 dst_sel:DWORD dst_unused:UNUSED_PAD src0_sel:DWORD src1_sel:WORD_0
	global_load_dwordx4 v[16:19], v15, s[10:11]
	s_waitcnt vmcnt(0)
	buffer_store_dword v16, off, s[36:39], 0 offset:1084 ; 4-byte Folded Spill
	buffer_store_dword v17, off, s[36:39], 0 offset:1088 ; 4-byte Folded Spill
	;; [unrolled: 1-line block ×4, first 2 shown]
	ds_read_b128 v[3:6], v52 offset:19440
	s_waitcnt lgkmcnt(0)
	v_mul_f64 v[13:14], v[5:6], v[18:19]
	v_fma_f64 v[91:92], v[3:4], v[16:17], -v[13:14]
	v_mul_f64 v[3:4], v[3:4], v[18:19]
	v_fma_f64 v[93:94], v[5:6], v[16:17], v[3:4]
	global_load_dwordx4 v[16:19], v15, s[10:11] offset:16
	s_waitcnt vmcnt(0)
	buffer_store_dword v16, off, s[36:39], 0 offset:1068 ; 4-byte Folded Spill
	buffer_store_dword v17, off, s[36:39], 0 offset:1072 ; 4-byte Folded Spill
	;; [unrolled: 1-line block ×4, first 2 shown]
	ds_read_b128 v[3:6], v52 offset:32400
	s_waitcnt lgkmcnt(0)
	v_mul_f64 v[13:14], v[5:6], v[18:19]
	v_fma_f64 v[95:96], v[3:4], v[16:17], -v[13:14]
	v_mul_f64 v[3:4], v[3:4], v[18:19]
	v_fma_f64 v[97:98], v[5:6], v[16:17], v[3:4]
	global_load_dwordx4 v[16:19], v15, s[10:11] offset:32
	s_waitcnt vmcnt(0)
	buffer_store_dword v16, off, s[36:39], 0 offset:1052 ; 4-byte Folded Spill
	buffer_store_dword v17, off, s[36:39], 0 offset:1056 ; 4-byte Folded Spill
	;; [unrolled: 1-line block ×4, first 2 shown]
	ds_read_b128 v[3:6], v52 offset:45360
	s_waitcnt lgkmcnt(0)
	v_mul_f64 v[13:14], v[5:6], v[18:19]
	v_fma_f64 v[99:100], v[3:4], v[16:17], -v[13:14]
	v_mul_f64 v[3:4], v[3:4], v[18:19]
	v_add_f64 v[113:114], v[95:96], -v[99:100]
	v_fma_f64 v[101:102], v[5:6], v[16:17], v[3:4]
	global_load_dwordx4 v[15:18], v15, s[10:11] offset:48
	s_waitcnt vmcnt(0)
	buffer_store_dword v15, off, s[36:39], 0 offset:972 ; 4-byte Folded Spill
	buffer_store_dword v16, off, s[36:39], 0 offset:976 ; 4-byte Folded Spill
	;; [unrolled: 1-line block ×4, first 2 shown]
	ds_read_b128 v[3:6], v52 offset:58320
	v_add_f64 v[109:110], v[97:98], -v[101:102]
	s_waitcnt lgkmcnt(0)
	v_mul_f64 v[13:14], v[5:6], v[17:18]
	v_fma_f64 v[103:104], v[3:4], v[15:16], -v[13:14]
	v_mul_f64 v[3:4], v[3:4], v[17:18]
	v_add_f64 v[111:112], v[91:92], -v[103:104]
	v_fma_f64 v[105:106], v[5:6], v[15:16], v[3:4]
	v_mul_u32_u24_sdwa v3, v75, v7 dst_sel:DWORD dst_unused:UNUSED_PAD src0_sel:WORD_0 src1_sel:DWORD
	v_lshrrev_b32_e32 v163, 19, v3
	v_mul_lo_u16 v3, v163, 10
	v_sub_nc_u16 v164, v75, v3
	v_lshlrev_b16 v3, 2, v164
	v_lshlrev_b32_sdwa v15, v78, v3 dst_sel:DWORD dst_unused:UNUSED_PAD src0_sel:DWORD src1_sel:WORD_0
	global_load_dwordx4 v[16:19], v15, s[10:11]
	s_waitcnt vmcnt(0)
	buffer_store_dword v16, off, s[36:39], 0 offset:988 ; 4-byte Folded Spill
	buffer_store_dword v17, off, s[36:39], 0 offset:992 ; 4-byte Folded Spill
	;; [unrolled: 1-line block ×4, first 2 shown]
	ds_read_b128 v[3:6], v52 offset:21600
	s_waitcnt lgkmcnt(0)
	v_mul_f64 v[13:14], v[5:6], v[18:19]
	v_fma_f64 v[115:116], v[3:4], v[16:17], -v[13:14]
	v_mul_f64 v[3:4], v[3:4], v[18:19]
	v_fma_f64 v[117:118], v[5:6], v[16:17], v[3:4]
	global_load_dwordx4 v[16:19], v15, s[10:11] offset:16
	s_waitcnt vmcnt(0)
	buffer_store_dword v16, off, s[36:39], 0 offset:1004 ; 4-byte Folded Spill
	buffer_store_dword v17, off, s[36:39], 0 offset:1008 ; 4-byte Folded Spill
	;; [unrolled: 1-line block ×4, first 2 shown]
	ds_read_b128 v[3:6], v52 offset:34560
	s_waitcnt lgkmcnt(0)
	v_mul_f64 v[13:14], v[5:6], v[18:19]
	v_fma_f64 v[119:120], v[3:4], v[16:17], -v[13:14]
	v_mul_f64 v[3:4], v[3:4], v[18:19]
	v_fma_f64 v[121:122], v[5:6], v[16:17], v[3:4]
	global_load_dwordx4 v[16:19], v15, s[10:11] offset:32
	s_waitcnt vmcnt(0)
	buffer_store_dword v16, off, s[36:39], 0 offset:1020 ; 4-byte Folded Spill
	buffer_store_dword v17, off, s[36:39], 0 offset:1024 ; 4-byte Folded Spill
	;; [unrolled: 1-line block ×4, first 2 shown]
	ds_read_b128 v[3:6], v52 offset:47520
	s_waitcnt lgkmcnt(0)
	v_mul_f64 v[13:14], v[5:6], v[18:19]
	v_fma_f64 v[123:124], v[3:4], v[16:17], -v[13:14]
	v_mul_f64 v[3:4], v[3:4], v[18:19]
	v_add_f64 v[153:154], v[119:120], -v[123:124]
	v_fma_f64 v[125:126], v[5:6], v[16:17], v[3:4]
	global_load_dwordx4 v[15:18], v15, s[10:11] offset:48
	s_waitcnt vmcnt(0)
	buffer_store_dword v15, off, s[36:39], 0 offset:1036 ; 4-byte Folded Spill
	buffer_store_dword v16, off, s[36:39], 0 offset:1040 ; 4-byte Folded Spill
	;; [unrolled: 1-line block ×4, first 2 shown]
	ds_read_b128 v[3:6], v52 offset:60480
	v_add_f64 v[131:132], v[121:122], -v[125:126]
	s_waitcnt lgkmcnt(0)
	v_mul_f64 v[13:14], v[5:6], v[17:18]
	v_fma_f64 v[127:128], v[3:4], v[15:16], -v[13:14]
	v_mul_f64 v[3:4], v[3:4], v[17:18]
	v_add_f64 v[133:134], v[115:116], -v[127:128]
	v_fma_f64 v[129:130], v[5:6], v[15:16], v[3:4]
	v_mul_u32_u24_sdwa v3, v51, v7 dst_sel:DWORD dst_unused:UNUSED_PAD src0_sel:WORD_0 src1_sel:DWORD
	v_lshrrev_b32_e32 v7, 19, v3
	v_mul_lo_u16 v3, v7, 10
	v_sub_nc_u16 v165, v51, v3
	v_lshlrev_b16 v3, 2, v165
	v_lshlrev_b32_sdwa v15, v78, v3 dst_sel:DWORD dst_unused:UNUSED_PAD src0_sel:DWORD src1_sel:WORD_0
	global_load_dwordx4 v[16:19], v15, s[10:11]
	s_waitcnt vmcnt(0)
	buffer_store_dword v16, off, s[36:39], 0 offset:956 ; 4-byte Folded Spill
	buffer_store_dword v17, off, s[36:39], 0 offset:960 ; 4-byte Folded Spill
	;; [unrolled: 1-line block ×4, first 2 shown]
	ds_read_b128 v[3:6], v52 offset:23760
	s_waitcnt lgkmcnt(0)
	v_mul_f64 v[13:14], v[5:6], v[18:19]
	v_fma_f64 v[135:136], v[3:4], v[16:17], -v[13:14]
	v_mul_f64 v[3:4], v[3:4], v[18:19]
	v_fma_f64 v[137:138], v[5:6], v[16:17], v[3:4]
	global_load_dwordx4 v[16:19], v15, s[10:11] offset:16
	s_waitcnt vmcnt(0)
	buffer_store_dword v16, off, s[36:39], 0 offset:940 ; 4-byte Folded Spill
	buffer_store_dword v17, off, s[36:39], 0 offset:944 ; 4-byte Folded Spill
	;; [unrolled: 1-line block ×4, first 2 shown]
	ds_read_b128 v[3:6], v52 offset:36720
	s_waitcnt lgkmcnt(0)
	v_mul_f64 v[13:14], v[5:6], v[18:19]
	v_fma_f64 v[139:140], v[3:4], v[16:17], -v[13:14]
	v_mul_f64 v[3:4], v[3:4], v[18:19]
	v_fma_f64 v[141:142], v[5:6], v[16:17], v[3:4]
	global_load_dwordx4 v[16:19], v15, s[10:11] offset:32
	s_waitcnt vmcnt(0)
	buffer_store_dword v16, off, s[36:39], 0 offset:924 ; 4-byte Folded Spill
	buffer_store_dword v17, off, s[36:39], 0 offset:928 ; 4-byte Folded Spill
	;; [unrolled: 1-line block ×4, first 2 shown]
	ds_read_b128 v[3:6], v52 offset:49680
	s_waitcnt lgkmcnt(0)
	v_mul_f64 v[13:14], v[5:6], v[18:19]
	v_fma_f64 v[145:146], v[3:4], v[16:17], -v[13:14]
	v_mul_f64 v[3:4], v[3:4], v[18:19]
	v_add_f64 v[157:158], v[139:140], -v[145:146]
	v_fma_f64 v[147:148], v[5:6], v[16:17], v[3:4]
	global_load_dwordx4 v[15:18], v15, s[10:11] offset:48
	s_waitcnt vmcnt(0)
	buffer_store_dword v15, off, s[36:39], 0 offset:908 ; 4-byte Folded Spill
	buffer_store_dword v16, off, s[36:39], 0 offset:912 ; 4-byte Folded Spill
	;; [unrolled: 1-line block ×4, first 2 shown]
	ds_read_b128 v[3:6], v52 offset:62640
	s_waitcnt lgkmcnt(0)
	v_mul_f64 v[13:14], v[5:6], v[17:18]
	v_fma_f64 v[149:150], v[3:4], v[15:16], -v[13:14]
	v_mul_f64 v[3:4], v[3:4], v[17:18]
	v_add_f64 v[13:14], v[23:24], v[27:28]
	v_add_f64 v[155:156], v[135:136], -v[149:150]
	v_fma_f64 v[151:152], v[5:6], v[15:16], v[3:4]
	v_add_f64 v[3:4], v[9:10], -v[23:24]
	v_add_f64 v[5:6], v[31:32], -v[27:28]
	v_add_f64 v[17:18], v[3:4], v[5:6]
	v_add_f64 v[3:4], v[21:22], -v[25:26]
	v_add_f64 v[5:6], v[33:34], -v[29:30]
	v_add_f64 v[19:20], v[3:4], v[5:6]
	ds_read_b128 v[3:6], v52
	s_waitcnt lgkmcnt(0)
	v_fma_f64 v[35:36], v[13:14], -0.5, v[3:4]
	v_add_f64 v[13:14], v[25:26], v[29:30]
	v_fma_f64 v[37:38], v[13:14], -0.5, v[5:6]
	v_fma_f64 v[13:14], v[39:40], s[18:19], v[35:36]
	v_fma_f64 v[35:36], v[39:40], s[20:21], v[35:36]
	;; [unrolled: 1-line block ×10, first 2 shown]
	v_add_f64 v[35:36], v[9:10], v[31:32]
	v_fma_f64 v[15:16], v[19:20], s[12:13], v[15:16]
	v_fma_f64 v[19:20], v[19:20], s[12:13], v[37:38]
	v_add_f64 v[37:38], v[21:22], v[33:34]
	v_fma_f64 v[35:36], v[35:36], -0.5, v[3:4]
	v_add_f64 v[3:4], v[3:4], v[9:10]
	v_add_f64 v[9:10], v[23:24], -v[9:10]
	v_fma_f64 v[37:38], v[37:38], -0.5, v[5:6]
	v_add_f64 v[5:6], v[5:6], v[21:22]
	v_add_f64 v[3:4], v[3:4], v[23:24]
	v_add_f64 v[21:22], v[25:26], -v[21:22]
	v_fma_f64 v[23:24], v[59:60], s[20:21], v[35:36]
	v_add_f64 v[5:6], v[5:6], v[25:26]
	v_add_f64 v[3:4], v[3:4], v[27:28]
	v_fma_f64 v[25:26], v[59:60], s[18:19], v[35:36]
	v_add_f64 v[27:28], v[27:28], -v[31:32]
	v_fma_f64 v[23:24], v[39:40], s[14:15], v[23:24]
	v_add_f64 v[59:60], v[43:44], -v[57:58]
	v_add_f64 v[35:36], v[47:48], v[53:54]
	v_add_f64 v[5:6], v[5:6], v[29:30]
	;; [unrolled: 1-line block ×3, first 2 shown]
	v_add_f64 v[29:30], v[29:30], -v[33:34]
	v_fma_f64 v[31:32], v[63:64], s[18:19], v[37:38]
	v_add_f64 v[9:10], v[9:10], v[27:28]
	v_fma_f64 v[25:26], v[39:40], s[16:17], v[25:26]
	v_add_f64 v[5:6], v[5:6], v[33:34]
	;; [unrolled: 2-line block ×3, first 2 shown]
	v_fma_f64 v[29:30], v[61:62], s[16:17], v[31:32]
	v_fma_f64 v[21:22], v[9:10], s[12:13], v[23:24]
	;; [unrolled: 1-line block ×3, first 2 shown]
	v_add_f64 v[9:10], v[41:42], -v[45:46]
	v_fma_f64 v[31:32], v[61:62], s[14:15], v[33:34]
	v_add_f64 v[33:34], v[45:46], v[49:50]
	v_fma_f64 v[23:24], v[27:28], s[12:13], v[29:30]
	v_add_f64 v[29:30], v[55:56], -v[49:50]
	v_add_f64 v[61:62], v[47:48], -v[53:54]
	v_fma_f64 v[27:28], v[27:28], s[12:13], v[31:32]
	v_add_f64 v[31:32], v[57:58], -v[53:54]
	v_add_f64 v[9:10], v[9:10], v[29:30]
	v_add_f64 v[29:30], v[43:44], -v[47:48]
	v_add_f64 v[39:40], v[29:30], v[31:32]
	ds_read_b128 v[29:32], v52 offset:2160
	s_waitcnt lgkmcnt(0)
	v_fma_f64 v[37:38], v[33:34], -0.5, v[29:30]
	v_fma_f64 v[63:64], v[35:36], -0.5, v[31:32]
	v_fma_f64 v[33:34], v[59:60], s[18:19], v[37:38]
	v_fma_f64 v[37:38], v[59:60], s[20:21], v[37:38]
	;; [unrolled: 1-line block ×10, first 2 shown]
	v_add_f64 v[9:10], v[41:42], v[55:56]
	v_fma_f64 v[35:36], v[39:40], s[12:13], v[35:36]
	v_fma_f64 v[39:40], v[39:40], s[12:13], v[63:64]
	v_add_f64 v[63:64], v[43:44], v[57:58]
	v_fma_f64 v[9:10], v[9:10], -0.5, v[29:30]
	v_add_f64 v[29:30], v[29:30], v[41:42]
	v_add_f64 v[41:42], v[45:46], -v[41:42]
	v_fma_f64 v[63:64], v[63:64], -0.5, v[31:32]
	v_add_f64 v[31:32], v[31:32], v[43:44]
	v_add_f64 v[43:44], v[47:48], -v[43:44]
	v_add_f64 v[29:30], v[29:30], v[45:46]
	v_fma_f64 v[45:46], v[61:62], s[20:21], v[9:10]
	v_fma_f64 v[9:10], v[61:62], s[18:19], v[9:10]
	v_add_f64 v[31:32], v[31:32], v[47:48]
	v_add_f64 v[47:48], v[53:54], -v[57:58]
	v_add_f64 v[29:30], v[29:30], v[49:50]
	v_add_f64 v[49:50], v[49:50], -v[55:56]
	v_fma_f64 v[9:10], v[59:60], s[16:17], v[9:10]
	v_add_f64 v[31:32], v[31:32], v[53:54]
	v_fma_f64 v[53:54], v[87:88], s[18:19], v[63:64]
	v_add_f64 v[47:48], v[43:44], v[47:48]
	v_add_f64 v[29:30], v[29:30], v[55:56]
	v_fma_f64 v[55:56], v[87:88], s[20:21], v[63:64]
	v_add_f64 v[49:50], v[41:42], v[49:50]
	v_fma_f64 v[41:42], v[59:60], s[14:15], v[45:46]
	v_fma_f64 v[43:44], v[85:86], s[16:17], v[53:54]
	v_add_f64 v[31:32], v[31:32], v[57:58]
	v_add_f64 v[57:58], v[69:70], v[73:74]
	;; [unrolled: 1-line block ×3, first 2 shown]
	v_add_f64 v[87:88], v[71:72], -v[79:80]
	v_fma_f64 v[53:54], v[85:86], s[14:15], v[55:56]
	v_fma_f64 v[45:46], v[49:50], s[12:13], v[9:10]
	;; [unrolled: 1-line block ×3, first 2 shown]
	v_add_f64 v[9:10], v[65:66], -v[69:70]
	v_add_f64 v[49:50], v[81:82], -v[73:74]
	v_fma_f64 v[43:44], v[47:48], s[12:13], v[43:44]
	v_add_f64 v[85:86], v[67:68], -v[83:84]
	v_fma_f64 v[47:48], v[47:48], s[12:13], v[53:54]
	v_add_f64 v[53:54], v[83:84], -v[79:80]
	v_add_f64 v[9:10], v[9:10], v[49:50]
	v_add_f64 v[49:50], v[67:68], -v[71:72]
	v_add_f64 v[49:50], v[49:50], v[53:54]
	ds_read_b128 v[53:56], v52 offset:4320
	s_waitcnt lgkmcnt(0)
	v_fma_f64 v[61:62], v[57:58], -0.5, v[53:54]
	v_fma_f64 v[63:64], v[59:60], -0.5, v[55:56]
	v_fma_f64 v[57:58], v[85:86], s[18:19], v[61:62]
	v_fma_f64 v[59:60], v[89:90], s[20:21], v[63:64]
	;; [unrolled: 1-line block ×12, first 2 shown]
	v_add_f64 v[9:10], v[65:66], v[81:82]
	v_add_f64 v[49:50], v[67:68], v[83:84]
	v_fma_f64 v[9:10], v[9:10], -0.5, v[53:54]
	v_fma_f64 v[49:50], v[49:50], -0.5, v[55:56]
	v_add_f64 v[53:54], v[53:54], v[65:66]
	v_add_f64 v[55:56], v[55:56], v[67:68]
	v_add_f64 v[65:66], v[69:70], -v[65:66]
	v_add_f64 v[67:68], v[71:72], -v[67:68]
	v_add_f64 v[53:54], v[53:54], v[69:70]
	v_add_f64 v[55:56], v[55:56], v[71:72]
	v_fma_f64 v[69:70], v[87:88], s[20:21], v[9:10]
	v_fma_f64 v[9:10], v[87:88], s[18:19], v[9:10]
	v_add_f64 v[71:72], v[79:80], -v[83:84]
	v_add_f64 v[53:54], v[53:54], v[73:74]
	v_add_f64 v[55:56], v[55:56], v[79:80]
	v_add_f64 v[73:74], v[73:74], -v[81:82]
	v_fma_f64 v[79:80], v[107:108], s[18:19], v[49:50]
	v_fma_f64 v[49:50], v[107:108], s[20:21], v[49:50]
	;; [unrolled: 1-line block ×3, first 2 shown]
	v_add_f64 v[71:72], v[67:68], v[71:72]
	v_add_f64 v[107:108], v[93:94], -v[105:106]
	v_add_f64 v[53:54], v[53:54], v[81:82]
	v_add_f64 v[55:56], v[55:56], v[83:84]
	;; [unrolled: 1-line block ×3, first 2 shown]
	v_fma_f64 v[67:68], v[89:90], s[16:17], v[79:80]
	v_fma_f64 v[49:50], v[89:90], s[14:15], v[49:50]
	;; [unrolled: 1-line block ×3, first 2 shown]
	ds_read_b128 v[79:82], v52 offset:6480
	v_add_f64 v[85:86], v[97:98], v[101:102]
	v_fma_f64 v[69:70], v[73:74], s[12:13], v[9:10]
	v_fma_f64 v[67:68], v[71:72], s[12:13], v[67:68]
	;; [unrolled: 1-line block ×3, first 2 shown]
	v_add_f64 v[9:10], v[91:92], -v[95:96]
	v_add_f64 v[49:50], v[103:104], -v[99:100]
	v_fma_f64 v[65:66], v[73:74], s[12:13], v[65:66]
	v_add_f64 v[73:74], v[105:106], -v[101:102]
	s_waitcnt lgkmcnt(0)
	v_fma_f64 v[87:88], v[85:86], -0.5, v[81:82]
	v_add_f64 v[9:10], v[9:10], v[49:50]
	v_add_f64 v[49:50], v[93:94], -v[97:98]
	v_fma_f64 v[85:86], v[111:112], s[20:21], v[87:88]
	v_fma_f64 v[87:88], v[111:112], s[18:19], v[87:88]
	v_add_f64 v[49:50], v[49:50], v[73:74]
	v_add_f64 v[73:74], v[95:96], v[99:100]
	v_fma_f64 v[85:86], v[113:114], s[16:17], v[85:86]
	v_fma_f64 v[89:90], v[113:114], s[14:15], v[87:88]
	v_fma_f64 v[73:74], v[73:74], -0.5, v[79:80]
	v_fma_f64 v[85:86], v[49:50], s[12:13], v[85:86]
	v_fma_f64 v[89:90], v[49:50], s[12:13], v[89:90]
	v_add_f64 v[49:50], v[93:94], v[105:106]
	v_fma_f64 v[83:84], v[107:108], s[18:19], v[73:74]
	v_fma_f64 v[73:74], v[107:108], s[20:21], v[73:74]
	v_fma_f64 v[49:50], v[49:50], -0.5, v[81:82]
	v_fma_f64 v[83:84], v[109:110], s[14:15], v[83:84]
	v_fma_f64 v[73:74], v[109:110], s[16:17], v[73:74]
	;; [unrolled: 1-line block ×4, first 2 shown]
	v_add_f64 v[9:10], v[91:92], v[103:104]
	v_add_f64 v[73:74], v[79:80], v[91:92]
	v_add_f64 v[91:92], v[95:96], -v[91:92]
	v_fma_f64 v[9:10], v[9:10], -0.5, v[79:80]
	v_add_f64 v[79:80], v[81:82], v[93:94]
	v_add_f64 v[73:74], v[73:74], v[95:96]
	v_fma_f64 v[95:96], v[109:110], s[20:21], v[9:10]
	v_add_f64 v[79:80], v[79:80], v[97:98]
	v_add_f64 v[73:74], v[73:74], v[99:100]
	v_fma_f64 v[9:10], v[109:110], s[18:19], v[9:10]
	v_add_f64 v[99:100], v[99:100], -v[103:104]
	v_add_f64 v[81:82], v[79:80], v[101:102]
	v_add_f64 v[79:80], v[73:74], v[103:104]
	v_add_f64 v[73:74], v[97:98], -v[93:94]
	v_add_f64 v[93:94], v[101:102], -v[105:106]
	v_fma_f64 v[97:98], v[113:114], s[18:19], v[49:50]
	v_fma_f64 v[49:50], v[113:114], s[20:21], v[49:50]
	v_add_f64 v[99:100], v[91:92], v[99:100]
	v_fma_f64 v[9:10], v[107:108], s[16:17], v[9:10]
	v_fma_f64 v[91:92], v[107:108], s[14:15], v[95:96]
	v_add_f64 v[103:104], v[117:118], -v[129:130]
	v_add_f64 v[107:108], v[121:122], v[125:126]
	v_add_f64 v[81:82], v[81:82], v[105:106]
	;; [unrolled: 1-line block ×3, first 2 shown]
	v_fma_f64 v[93:94], v[111:112], s[16:17], v[97:98]
	v_fma_f64 v[49:50], v[111:112], s[14:15], v[49:50]
	;; [unrolled: 1-line block ×3, first 2 shown]
	v_add_f64 v[9:10], v[115:116], -v[119:120]
	v_fma_f64 v[91:92], v[99:100], s[12:13], v[91:92]
	ds_read_b128 v[99:102], v52 offset:8640
	v_fma_f64 v[93:94], v[73:74], s[12:13], v[93:94]
	v_fma_f64 v[97:98], v[73:74], s[12:13], v[49:50]
	v_add_f64 v[49:50], v[127:128], -v[123:124]
	v_add_f64 v[73:74], v[129:130], -v[125:126]
	s_waitcnt lgkmcnt(0)
	v_fma_f64 v[111:112], v[107:108], -0.5, v[101:102]
	v_add_f64 v[9:10], v[9:10], v[49:50]
	v_add_f64 v[49:50], v[117:118], -v[121:122]
	v_fma_f64 v[107:108], v[133:134], s[20:21], v[111:112]
	v_add_f64 v[49:50], v[49:50], v[73:74]
	v_add_f64 v[73:74], v[119:120], v[123:124]
	v_fma_f64 v[109:110], v[153:154], s[16:17], v[107:108]
	v_fma_f64 v[73:74], v[73:74], -0.5, v[99:100]
	v_fma_f64 v[109:110], v[49:50], s[12:13], v[109:110]
	v_fma_f64 v[105:106], v[103:104], s[18:19], v[73:74]
	;; [unrolled: 1-line block ×8, first 2 shown]
	v_add_f64 v[9:10], v[115:116], v[127:128]
	v_add_f64 v[73:74], v[99:100], v[115:116]
	v_fma_f64 v[105:106], v[153:154], s[14:15], v[105:106]
	v_fma_f64 v[9:10], v[9:10], -0.5, v[99:100]
	v_add_f64 v[99:100], v[101:102], v[117:118]
	v_add_f64 v[73:74], v[73:74], v[119:120]
	v_fma_f64 v[113:114], v[49:50], s[12:13], v[105:106]
	v_add_f64 v[49:50], v[117:118], v[129:130]
	v_add_f64 v[105:106], v[119:120], -v[115:116]
	v_add_f64 v[99:100], v[99:100], v[121:122]
	v_add_f64 v[73:74], v[73:74], v[123:124]
	v_fma_f64 v[115:116], v[131:132], s[20:21], v[9:10]
	v_fma_f64 v[9:10], v[131:132], s[18:19], v[9:10]
	v_add_f64 v[119:120], v[123:124], -v[127:128]
	v_fma_f64 v[49:50], v[49:50], -0.5, v[101:102]
	v_add_f64 v[101:102], v[99:100], v[125:126]
	v_add_f64 v[99:100], v[73:74], v[127:128]
	v_add_f64 v[73:74], v[121:122], -v[117:118]
	v_add_f64 v[117:118], v[125:126], -v[129:130]
	v_add_f64 v[105:106], v[105:106], v[119:120]
	v_fma_f64 v[9:10], v[103:104], s[16:17], v[9:10]
	v_fma_f64 v[115:116], v[103:104], s[14:15], v[115:116]
	ds_read_b128 v[123:126], v52 offset:10800
	v_add_f64 v[127:128], v[141:142], v[147:148]
	v_fma_f64 v[121:122], v[153:154], s[18:19], v[49:50]
	v_fma_f64 v[49:50], v[153:154], s[20:21], v[49:50]
	v_add_f64 v[153:154], v[141:142], -v[147:148]
	v_add_f64 v[101:102], v[101:102], v[129:130]
	v_add_f64 v[73:74], v[73:74], v[117:118]
	v_fma_f64 v[119:120], v[105:106], s[12:13], v[9:10]
	v_add_f64 v[9:10], v[135:136], -v[139:140]
	v_fma_f64 v[115:116], v[105:106], s[12:13], v[115:116]
	s_waitcnt lgkmcnt(0)
	v_fma_f64 v[131:132], v[127:128], -0.5, v[125:126]
	v_fma_f64 v[103:104], v[133:134], s[16:17], v[121:122]
	v_fma_f64 v[49:50], v[133:134], s[14:15], v[49:50]
	;; [unrolled: 1-line block ×5, first 2 shown]
	v_add_f64 v[49:50], v[149:150], -v[145:146]
	v_add_f64 v[73:74], v[151:152], -v[147:148]
	;; [unrolled: 1-line block ×3, first 2 shown]
	v_fma_f64 v[129:130], v[157:158], s[16:17], v[127:128]
	v_add_f64 v[9:10], v[9:10], v[49:50]
	v_add_f64 v[49:50], v[137:138], -v[141:142]
	v_add_f64 v[49:50], v[49:50], v[73:74]
	v_add_f64 v[73:74], v[139:140], v[145:146]
	v_fma_f64 v[129:130], v[49:50], s[12:13], v[129:130]
	v_fma_f64 v[73:74], v[73:74], -0.5, v[123:124]
	v_fma_f64 v[105:106], v[103:104], s[18:19], v[73:74]
	v_fma_f64 v[73:74], v[103:104], s[20:21], v[73:74]
	;; [unrolled: 1-line block ×7, first 2 shown]
	v_add_f64 v[9:10], v[135:136], v[149:150]
	v_add_f64 v[73:74], v[123:124], v[135:136]
	v_add_f64 v[135:136], v[139:140], -v[135:136]
	v_fma_f64 v[105:106], v[157:158], s[14:15], v[105:106]
	v_fma_f64 v[9:10], v[9:10], -0.5, v[123:124]
	v_add_f64 v[73:74], v[73:74], v[139:140]
	v_fma_f64 v[133:134], v[49:50], s[12:13], v[105:106]
	v_add_f64 v[105:106], v[125:126], v[137:138]
	v_add_f64 v[49:50], v[137:138], v[151:152]
	v_fma_f64 v[139:140], v[153:154], s[20:21], v[9:10]
	v_fma_f64 v[9:10], v[153:154], s[18:19], v[9:10]
	v_add_f64 v[73:74], v[73:74], v[145:146]
	v_add_f64 v[145:146], v[145:146], -v[149:150]
	v_add_f64 v[105:106], v[105:106], v[141:142]
	v_fma_f64 v[49:50], v[49:50], -0.5, v[125:126]
	v_fma_f64 v[9:10], v[103:104], s[16:17], v[9:10]
	v_add_f64 v[123:124], v[73:74], v[149:150]
	v_add_f64 v[73:74], v[141:142], -v[137:138]
	v_add_f64 v[141:142], v[135:136], v[145:146]
	v_fma_f64 v[135:136], v[103:104], s[14:15], v[139:140]
	v_add_f64 v[105:106], v[105:106], v[147:148]
	v_fma_f64 v[137:138], v[157:158], s[18:19], v[49:50]
	v_fma_f64 v[49:50], v[157:158], s[20:21], v[49:50]
	;; [unrolled: 1-line block ×3, first 2 shown]
	v_mov_b32_e32 v9, 50
	v_fma_f64 v[135:136], v[141:142], s[12:13], v[135:136]
	v_mul_u32_u24_sdwa v1, v1, v9 dst_sel:DWORD dst_unused:UNUSED_PAD src0_sel:WORD_0 src1_sel:DWORD
	v_add_lshl_u32 v1, v1, v2, 4
	v_add_f64 v[125:126], v[105:106], v[151:152]
	v_add_f64 v[105:106], v[147:148], -v[151:152]
	buffer_store_dword v1, off, s[36:39], 0 offset:904 ; 4-byte Folded Spill
	s_waitcnt_vscnt null, 0x0
	s_barrier
	buffer_gl0_inv
	ds_write_b128 v1, v[3:6]
	ds_write_b128 v1, v[13:16] offset:160
	ds_write_b128 v1, v[21:24] offset:320
	;; [unrolled: 1-line block ×4, first 2 shown]
	v_mad_u16 v1, v11, 50, v77
	v_fma_f64 v[49:50], v[155:156], s[14:15], v[49:50]
	v_fma_f64 v[103:104], v[155:156], s[16:17], v[137:138]
	v_lshrrev_b16 v17, 1, v12
	v_add_co_u32 v77, null, 0x4bf, v166
	v_lshlrev_b32_sdwa v1, v78, v1 dst_sel:DWORD dst_unused:UNUSED_PAD src0_sel:DWORD src1_sel:WORD_0
	buffer_store_dword v1, off, s[36:39], 0 offset:900 ; 4-byte Folded Spill
	ds_write_b128 v1, v[29:32]
	ds_write_b128 v1, v[33:36] offset:160
	ds_write_b128 v1, v[41:44] offset:320
	;; [unrolled: 1-line block ×4, first 2 shown]
	v_mad_u16 v1, v159, 50, v160
	v_mov_b32_e32 v34, 0x147b
	v_add_f64 v[73:74], v[73:74], v[105:106]
	v_lshlrev_b32_sdwa v1, v78, v1 dst_sel:DWORD dst_unused:UNUSED_PAD src0_sel:DWORD src1_sel:WORD_0
	buffer_store_dword v1, off, s[36:39], 0 offset:896 ; 4-byte Folded Spill
	ds_write_b128 v1, v[53:56]
	ds_write_b128 v1, v[57:60] offset:160
	ds_write_b128 v1, v[65:68] offset:320
	;; [unrolled: 1-line block ×4, first 2 shown]
	v_mad_u16 v1, v161, 50, v162
	v_lshlrev_b32_sdwa v1, v78, v1 dst_sel:DWORD dst_unused:UNUSED_PAD src0_sel:DWORD src1_sel:WORD_0
	buffer_store_dword v1, off, s[36:39], 0 offset:892 ; 4-byte Folded Spill
	ds_write_b128 v1, v[79:82]
	ds_write_b128 v1, v[83:86] offset:160
	ds_write_b128 v1, v[91:94] offset:320
	;; [unrolled: 1-line block ×4, first 2 shown]
	v_mad_u16 v1, v163, 50, v164
	v_fma_f64 v[141:142], v[73:74], s[12:13], v[49:50]
	v_lshrrev_b16 v50, 11, v0
	v_fma_f64 v[137:138], v[73:74], s[12:13], v[103:104]
	v_add_co_u32 v81, null, 0x32a, v166
	v_lshlrev_b32_sdwa v1, v78, v1 dst_sel:DWORD dst_unused:UNUSED_PAD src0_sel:DWORD src1_sel:WORD_0
	v_mul_lo_u16 v0, v50, 50
	v_add_co_u32 v80, null, 0x3b1, v166
	v_add_co_u32 v79, null, 0x438, v166
	v_sub_nc_u16 v0, v144, v0
	buffer_store_dword v1, off, s[36:39], 0 offset:888 ; 4-byte Folded Spill
	ds_write_b128 v1, v[99:102]
	ds_write_b128 v1, v[107:110] offset:160
	ds_write_b128 v1, v[115:118] offset:320
	;; [unrolled: 1-line block ×4, first 2 shown]
	v_mad_u16 v1, v7, 50, v165
	v_lshrrev_b16 v11, 1, v80
	v_and_b32_e32 v149, 0xff, v0
	v_lshlrev_b32_sdwa v1, v78, v1 dst_sel:DWORD dst_unused:UNUSED_PAD src0_sel:DWORD src1_sel:WORD_0
	v_lshlrev_b32_e32 v9, 5, v149
	buffer_store_dword v1, off, s[36:39], 0 offset:880 ; 4-byte Folded Spill
	ds_write_b128 v1, v[123:126]
	ds_write_b128 v1, v[127:130] offset:160
	ds_write_b128 v1, v[135:138] offset:320
	ds_write_b128 v1, v[139:142] offset:480
	ds_write_b128 v1, v[131:134] offset:640
	s_waitcnt lgkmcnt(0)
	s_waitcnt_vscnt null, 0x0
	s_barrier
	buffer_gl0_inv
	global_load_dwordx4 v[13:16], v9, s[10:11] offset:640
	s_waitcnt vmcnt(0)
	buffer_store_dword v13, off, s[36:39], 0 offset:848 ; 4-byte Folded Spill
	buffer_store_dword v14, off, s[36:39], 0 offset:852 ; 4-byte Folded Spill
	;; [unrolled: 1-line block ×4, first 2 shown]
	ds_read_b128 v[0:3], v52 offset:21600
	s_waitcnt lgkmcnt(0)
	v_mul_f64 v[4:5], v[2:3], v[15:16]
	v_fma_f64 v[4:5], v[0:1], v[13:14], -v[4:5]
	v_mul_f64 v[0:1], v[0:1], v[15:16]
	v_fma_f64 v[6:7], v[2:3], v[13:14], v[0:1]
	global_load_dwordx4 v[13:16], v9, s[10:11] offset:656
	s_waitcnt vmcnt(0)
	buffer_store_dword v13, off, s[36:39], 0 offset:864 ; 4-byte Folded Spill
	buffer_store_dword v14, off, s[36:39], 0 offset:868 ; 4-byte Folded Spill
	;; [unrolled: 1-line block ×4, first 2 shown]
	ds_read_b128 v[0:3], v52 offset:43200
	s_waitcnt lgkmcnt(0)
	v_mul_f64 v[9:10], v[2:3], v[15:16]
	v_fma_f64 v[18:19], v[0:1], v[13:14], -v[9:10]
	v_mul_f64 v[0:1], v[0:1], v[15:16]
	v_fma_f64 v[20:21], v[2:3], v[13:14], v[0:1]
	v_lshrrev_b16 v0, 1, v8
	v_mul_u32_u24_sdwa v0, v0, v34 dst_sel:DWORD dst_unused:UNUSED_PAD src0_sel:WORD_0 src1_sel:DWORD
	v_lshrrev_b32_e32 v150, 17, v0
	v_mul_lo_u16 v0, v150, 50
	v_sub_nc_u16 v151, v8, v0
	v_lshlrev_b16 v0, 5, v151
	v_and_b32_e32 v0, 0xffff, v0
	v_add_co_u32 v9, s6, s10, v0
	v_add_co_ci_u32_e64 v10, null, s11, 0, s6
	global_load_dwordx4 v[22:25], v[9:10], off offset:640
	s_waitcnt vmcnt(0)
	buffer_store_dword v22, off, s[36:39], 0 offset:832 ; 4-byte Folded Spill
	buffer_store_dword v23, off, s[36:39], 0 offset:836 ; 4-byte Folded Spill
	buffer_store_dword v24, off, s[36:39], 0 offset:840 ; 4-byte Folded Spill
	buffer_store_dword v25, off, s[36:39], 0 offset:844 ; 4-byte Folded Spill
	ds_read_b128 v[0:3], v52 offset:23760
	s_waitcnt lgkmcnt(0)
	v_mul_f64 v[13:14], v[2:3], v[24:25]
	v_fma_f64 v[26:27], v[0:1], v[22:23], -v[13:14]
	global_load_dwordx4 v[13:16], v[9:10], off offset:656
	v_mul_f64 v[0:1], v[0:1], v[24:25]
	s_waitcnt vmcnt(0)
	buffer_store_dword v13, off, s[36:39], 0 offset:688 ; 4-byte Folded Spill
	buffer_store_dword v14, off, s[36:39], 0 offset:692 ; 4-byte Folded Spill
	;; [unrolled: 1-line block ×4, first 2 shown]
	v_fma_f64 v[28:29], v[2:3], v[22:23], v[0:1]
	ds_read_b128 v[0:3], v52 offset:45360
	s_waitcnt lgkmcnt(0)
	v_mul_f64 v[9:10], v[2:3], v[15:16]
	v_fma_f64 v[30:31], v[0:1], v[13:14], -v[9:10]
	v_mul_f64 v[0:1], v[0:1], v[15:16]
	v_fma_f64 v[32:33], v[2:3], v[13:14], v[0:1]
	v_mul_u32_u24_sdwa v0, v17, v34 dst_sel:DWORD dst_unused:UNUSED_PAD src0_sel:WORD_0 src1_sel:DWORD
	v_lshrrev_b32_e32 v152, 17, v0
	v_mul_lo_u16 v0, v152, 50
	v_sub_nc_u16 v153, v12, v0
	v_lshlrev_b16 v0, 5, v153
	v_and_b32_e32 v0, 0xffff, v0
	v_add_co_u32 v9, s6, s10, v0
	v_add_co_ci_u32_e64 v10, null, s11, 0, s6
	global_load_dwordx4 v[22:25], v[9:10], off offset:640
	s_waitcnt vmcnt(0)
	buffer_store_dword v22, off, s[36:39], 0 offset:784 ; 4-byte Folded Spill
	buffer_store_dword v23, off, s[36:39], 0 offset:788 ; 4-byte Folded Spill
	buffer_store_dword v24, off, s[36:39], 0 offset:792 ; 4-byte Folded Spill
	buffer_store_dword v25, off, s[36:39], 0 offset:796 ; 4-byte Folded Spill
	ds_read_b128 v[0:3], v52 offset:25920
	s_waitcnt lgkmcnt(0)
	v_mul_f64 v[13:14], v[2:3], v[24:25]
	v_fma_f64 v[38:39], v[0:1], v[22:23], -v[13:14]
	global_load_dwordx4 v[13:16], v[9:10], off offset:656
	v_mul_f64 v[0:1], v[0:1], v[24:25]
	s_waitcnt vmcnt(0)
	buffer_store_dword v13, off, s[36:39], 0 offset:816 ; 4-byte Folded Spill
	buffer_store_dword v14, off, s[36:39], 0 offset:820 ; 4-byte Folded Spill
	;; [unrolled: 1-line block ×4, first 2 shown]
	v_fma_f64 v[40:41], v[2:3], v[22:23], v[0:1]
	ds_read_b128 v[0:3], v52 offset:47520
	s_waitcnt lgkmcnt(0)
	v_mul_f64 v[9:10], v[2:3], v[15:16]
	v_fma_f64 v[42:43], v[0:1], v[13:14], -v[9:10]
	v_mul_f64 v[0:1], v[0:1], v[15:16]
	v_lshrrev_b16 v16, 1, v76
	v_lshrrev_b16 v15, 1, v75
	v_fma_f64 v[44:45], v[2:3], v[13:14], v[0:1]
	v_mul_u32_u24_sdwa v0, v16, v34 dst_sel:DWORD dst_unused:UNUSED_PAD src0_sel:WORD_0 src1_sel:DWORD
	v_lshrrev_b32_e32 v154, 17, v0
	v_mul_lo_u16 v0, v154, 50
	v_sub_nc_u16 v155, v76, v0
	v_lshlrev_b16 v0, 5, v155
	v_and_b32_e32 v0, 0xffff, v0
	v_add_co_u32 v9, s6, s10, v0
	v_add_co_ci_u32_e64 v10, null, s11, 0, s6
	global_load_dwordx4 v[22:25], v[9:10], off offset:640
	s_waitcnt vmcnt(0)
	buffer_store_dword v22, off, s[36:39], 0 offset:800 ; 4-byte Folded Spill
	buffer_store_dword v23, off, s[36:39], 0 offset:804 ; 4-byte Folded Spill
	buffer_store_dword v24, off, s[36:39], 0 offset:808 ; 4-byte Folded Spill
	buffer_store_dword v25, off, s[36:39], 0 offset:812 ; 4-byte Folded Spill
	ds_read_b128 v[0:3], v52 offset:28080
	s_waitcnt lgkmcnt(0)
	v_mul_f64 v[13:14], v[2:3], v[24:25]
	v_fma_f64 v[53:54], v[0:1], v[22:23], -v[13:14]
	v_mul_f64 v[0:1], v[0:1], v[24:25]
	v_fma_f64 v[55:56], v[2:3], v[22:23], v[0:1]
	global_load_dwordx4 v[22:25], v[9:10], off offset:656
	s_waitcnt vmcnt(0)
	buffer_store_dword v22, off, s[36:39], 0 offset:608 ; 4-byte Folded Spill
	buffer_store_dword v23, off, s[36:39], 0 offset:612 ; 4-byte Folded Spill
	;; [unrolled: 1-line block ×4, first 2 shown]
	ds_read_b128 v[0:3], v52 offset:49680
	s_waitcnt lgkmcnt(0)
	v_mul_f64 v[9:10], v[2:3], v[24:25]
	v_fma_f64 v[57:58], v[0:1], v[22:23], -v[9:10]
	v_mul_f64 v[0:1], v[0:1], v[24:25]
	v_add_f64 v[61:62], v[53:54], v[57:58]
	v_fma_f64 v[59:60], v[2:3], v[22:23], v[0:1]
	v_mul_u32_u24_sdwa v0, v15, v34 dst_sel:DWORD dst_unused:UNUSED_PAD src0_sel:WORD_0 src1_sel:DWORD
	v_lshrrev_b32_e32 v156, 17, v0
	v_mul_lo_u16 v0, v156, 50
	v_sub_nc_u16 v157, v75, v0
	v_lshlrev_b16 v0, 5, v157
	v_add_f64 v[63:64], v[55:56], v[59:60]
	v_and_b32_e32 v0, 0xffff, v0
	v_add_co_u32 v9, s6, s10, v0
	v_add_co_ci_u32_e64 v10, null, s11, 0, s6
	global_load_dwordx4 v[22:25], v[9:10], off offset:640
	s_waitcnt vmcnt(0)
	buffer_store_dword v22, off, s[36:39], 0 offset:736 ; 4-byte Folded Spill
	buffer_store_dword v23, off, s[36:39], 0 offset:740 ; 4-byte Folded Spill
	;; [unrolled: 1-line block ×4, first 2 shown]
	ds_read_b128 v[0:3], v52 offset:30240
	s_waitcnt lgkmcnt(0)
	v_mul_f64 v[13:14], v[2:3], v[24:25]
	v_fma_f64 v[65:66], v[0:1], v[22:23], -v[13:14]
	v_mul_f64 v[0:1], v[0:1], v[24:25]
	v_lshrrev_b16 v14, 1, v51
	v_lshrrev_b16 v13, 1, v81
	v_fma_f64 v[67:68], v[2:3], v[22:23], v[0:1]
	global_load_dwordx4 v[22:25], v[9:10], off offset:656
	s_waitcnt vmcnt(0)
	buffer_store_dword v22, off, s[36:39], 0 offset:768 ; 4-byte Folded Spill
	buffer_store_dword v23, off, s[36:39], 0 offset:772 ; 4-byte Folded Spill
	;; [unrolled: 1-line block ×4, first 2 shown]
	ds_read_b128 v[0:3], v52 offset:51840
	s_waitcnt lgkmcnt(0)
	v_mul_f64 v[9:10], v[2:3], v[24:25]
	v_fma_f64 v[69:70], v[0:1], v[22:23], -v[9:10]
	v_mul_f64 v[0:1], v[0:1], v[24:25]
	v_add_f64 v[82:83], v[65:66], v[69:70]
	v_fma_f64 v[71:72], v[2:3], v[22:23], v[0:1]
	v_mul_u32_u24_sdwa v0, v14, v34 dst_sel:DWORD dst_unused:UNUSED_PAD src0_sel:WORD_0 src1_sel:DWORD
	v_lshrrev_b32_e32 v158, 17, v0
	v_mul_lo_u16 v0, v158, 50
	v_sub_nc_u16 v159, v51, v0
	v_lshlrev_b16 v0, 5, v159
	v_add_f64 v[84:85], v[67:68], v[71:72]
	v_and_b32_e32 v0, 0xffff, v0
	v_add_co_u32 v9, s6, s10, v0
	v_add_co_ci_u32_e64 v10, null, s11, 0, s6
	global_load_dwordx4 v[46:49], v[9:10], off offset:640
	s_waitcnt vmcnt(0)
	buffer_store_dword v46, off, s[36:39], 0 offset:752 ; 4-byte Folded Spill
	buffer_store_dword v47, off, s[36:39], 0 offset:756 ; 4-byte Folded Spill
	;; [unrolled: 1-line block ×4, first 2 shown]
	ds_read_b128 v[0:3], v52 offset:32400
	s_waitcnt lgkmcnt(0)
	v_mul_f64 v[22:23], v[2:3], v[48:49]
	v_fma_f64 v[73:74], v[0:1], v[46:47], -v[22:23]
	global_load_dwordx4 v[22:25], v[9:10], off offset:656
	v_mul_f64 v[0:1], v[0:1], v[48:49]
	s_waitcnt vmcnt(0)
	buffer_store_dword v22, off, s[36:39], 0 offset:592 ; 4-byte Folded Spill
	buffer_store_dword v23, off, s[36:39], 0 offset:596 ; 4-byte Folded Spill
	;; [unrolled: 1-line block ×4, first 2 shown]
	v_fma_f64 v[86:87], v[2:3], v[46:47], v[0:1]
	ds_read_b128 v[0:3], v52 offset:54000
	s_waitcnt lgkmcnt(0)
	v_mul_f64 v[9:10], v[2:3], v[24:25]
	v_fma_f64 v[88:89], v[0:1], v[22:23], -v[9:10]
	v_mul_f64 v[0:1], v[0:1], v[24:25]
	v_add_f64 v[92:93], v[73:74], v[88:89]
	v_fma_f64 v[90:91], v[2:3], v[22:23], v[0:1]
	v_mul_u32_u24_sdwa v0, v13, v34 dst_sel:DWORD dst_unused:UNUSED_PAD src0_sel:WORD_0 src1_sel:DWORD
	v_lshrrev_b32_e32 v160, 17, v0
	v_mul_lo_u16 v0, v160, 50
	v_sub_nc_u16 v161, v81, v0
	v_lshlrev_b16 v0, 5, v161
	v_add_f64 v[94:95], v[86:87], v[90:91]
	v_add_f64 v[96:97], v[86:87], -v[90:91]
	v_and_b32_e32 v0, 0xffff, v0
	v_add_co_u32 v9, s6, s10, v0
	v_add_co_ci_u32_e64 v10, null, s11, 0, s6
	global_load_dwordx4 v[46:49], v[9:10], off offset:640
	s_waitcnt vmcnt(0)
	buffer_store_dword v46, off, s[36:39], 0 offset:672 ; 4-byte Folded Spill
	buffer_store_dword v47, off, s[36:39], 0 offset:676 ; 4-byte Folded Spill
	;; [unrolled: 1-line block ×4, first 2 shown]
	ds_read_b128 v[0:3], v52 offset:34560
	s_waitcnt lgkmcnt(0)
	v_mul_f64 v[22:23], v[2:3], v[48:49]
	v_fma_f64 v[98:99], v[0:1], v[46:47], -v[22:23]
	global_load_dwordx4 v[22:25], v[9:10], off offset:656
	v_mul_f64 v[0:1], v[0:1], v[48:49]
	s_waitcnt vmcnt(0)
	buffer_store_dword v22, off, s[36:39], 0 offset:704 ; 4-byte Folded Spill
	buffer_store_dword v23, off, s[36:39], 0 offset:708 ; 4-byte Folded Spill
	;; [unrolled: 1-line block ×4, first 2 shown]
	v_fma_f64 v[100:101], v[2:3], v[46:47], v[0:1]
	ds_read_b128 v[0:3], v52 offset:56160
	s_waitcnt lgkmcnt(0)
	v_mul_f64 v[9:10], v[2:3], v[24:25]
	v_fma_f64 v[102:103], v[0:1], v[22:23], -v[9:10]
	v_mul_f64 v[0:1], v[0:1], v[24:25]
	v_fma_f64 v[104:105], v[2:3], v[22:23], v[0:1]
	v_mul_u32_u24_sdwa v0, v11, v34 dst_sel:DWORD dst_unused:UNUSED_PAD src0_sel:WORD_0 src1_sel:DWORD
	v_lshrrev_b32_e32 v162, 17, v0
	v_mul_lo_u16 v0, v162, 50
	v_sub_nc_u16 v163, v80, v0
	v_lshlrev_b16 v0, 5, v163
	v_add_f64 v[106:107], v[100:101], v[104:105]
	v_and_b32_e32 v0, 0xffff, v0
	v_add_co_u32 v9, s6, s10, v0
	v_add_co_ci_u32_e64 v10, null, s11, 0, s6
	global_load_dwordx4 v[46:49], v[9:10], off offset:640
	s_waitcnt vmcnt(0)
	buffer_store_dword v46, off, s[36:39], 0 offset:720 ; 4-byte Folded Spill
	buffer_store_dword v47, off, s[36:39], 0 offset:724 ; 4-byte Folded Spill
	;; [unrolled: 1-line block ×4, first 2 shown]
	ds_read_b128 v[0:3], v52 offset:36720
	s_waitcnt lgkmcnt(0)
	v_mul_f64 v[22:23], v[2:3], v[48:49]
	v_fma_f64 v[115:116], v[0:1], v[46:47], -v[22:23]
	global_load_dwordx4 v[22:25], v[9:10], off offset:656
	v_mul_f64 v[0:1], v[0:1], v[48:49]
	s_waitcnt vmcnt(0)
	buffer_store_dword v22, off, s[36:39], 0 offset:576 ; 4-byte Folded Spill
	buffer_store_dword v23, off, s[36:39], 0 offset:580 ; 4-byte Folded Spill
	;; [unrolled: 1-line block ×4, first 2 shown]
	v_fma_f64 v[117:118], v[2:3], v[46:47], v[0:1]
	ds_read_b128 v[0:3], v52 offset:58320
	s_waitcnt lgkmcnt(0)
	v_mul_f64 v[9:10], v[2:3], v[24:25]
	v_fma_f64 v[119:120], v[0:1], v[22:23], -v[9:10]
	v_mul_f64 v[0:1], v[0:1], v[24:25]
	v_lshrrev_b16 v10, 1, v79
	v_lshrrev_b16 v9, 1, v77
	v_fma_f64 v[121:122], v[2:3], v[22:23], v[0:1]
	v_mul_u32_u24_sdwa v0, v10, v34 dst_sel:DWORD dst_unused:UNUSED_PAD src0_sel:WORD_0 src1_sel:DWORD
	v_lshrrev_b32_e32 v164, 17, v0
	v_mul_lo_u16 v0, v164, 50
	v_sub_nc_u16 v165, v79, v0
	v_lshlrev_b16 v0, 5, v165
	v_and_b32_e32 v0, 0xffff, v0
	v_add_co_u32 v22, s6, s10, v0
	v_add_co_ci_u32_e64 v23, null, s11, 0, s6
	global_load_dwordx4 v[46:49], v[22:23], off offset:640
	s_waitcnt vmcnt(0)
	buffer_store_dword v46, off, s[36:39], 0 offset:624 ; 4-byte Folded Spill
	buffer_store_dword v47, off, s[36:39], 0 offset:628 ; 4-byte Folded Spill
	;; [unrolled: 1-line block ×4, first 2 shown]
	ds_read_b128 v[0:3], v52 offset:38880
	s_waitcnt lgkmcnt(0)
	v_mul_f64 v[24:25], v[2:3], v[48:49]
	v_fma_f64 v[127:128], v[0:1], v[46:47], -v[24:25]
	v_mul_f64 v[0:1], v[0:1], v[48:49]
	v_fma_f64 v[129:130], v[2:3], v[46:47], v[0:1]
	global_load_dwordx4 v[46:49], v[22:23], off offset:656
	s_waitcnt vmcnt(0)
	buffer_store_dword v46, off, s[36:39], 0 offset:640 ; 4-byte Folded Spill
	buffer_store_dword v47, off, s[36:39], 0 offset:644 ; 4-byte Folded Spill
	;; [unrolled: 1-line block ×4, first 2 shown]
	ds_read_b128 v[0:3], v52 offset:60480
	s_waitcnt lgkmcnt(0)
	v_mul_f64 v[22:23], v[2:3], v[48:49]
	v_fma_f64 v[131:132], v[0:1], v[46:47], -v[22:23]
	v_mul_f64 v[0:1], v[0:1], v[48:49]
	v_add_f64 v[48:49], v[40:41], v[44:45]
	v_fma_f64 v[133:134], v[2:3], v[46:47], v[0:1]
	v_mul_u32_u24_sdwa v0, v9, v34 dst_sel:DWORD dst_unused:UNUSED_PAD src0_sel:WORD_0 src1_sel:DWORD
	v_add_f64 v[46:47], v[38:39], v[42:43]
	v_lshrrev_b32_e32 v166, 17, v0
	v_mul_lo_u16 v0, v166, 50
	v_sub_nc_u16 v167, v77, v0
	v_lshlrev_b16 v0, 5, v167
	v_and_b32_e32 v0, 0xffff, v0
	v_add_co_u32 v22, s6, s10, v0
	v_add_co_ci_u32_e64 v23, null, s11, 0, s6
	s_mov_b32 s6, s8
	global_load_dwordx4 v[34:37], v[22:23], off offset:640
	s_waitcnt vmcnt(0)
	buffer_store_dword v34, off, s[36:39], 0 offset:656 ; 4-byte Folded Spill
	buffer_store_dword v35, off, s[36:39], 0 offset:660 ; 4-byte Folded Spill
	;; [unrolled: 1-line block ×4, first 2 shown]
	ds_read_b128 v[0:3], v52 offset:41040
	s_waitcnt lgkmcnt(0)
	v_mul_f64 v[24:25], v[2:3], v[36:37]
	v_fma_f64 v[139:140], v[0:1], v[34:35], -v[24:25]
	v_mul_f64 v[0:1], v[0:1], v[36:37]
	v_add_f64 v[24:25], v[6:7], v[20:21]
	v_fma_f64 v[141:142], v[2:3], v[34:35], v[0:1]
	global_load_dwordx4 v[34:37], v[22:23], off offset:656
	s_waitcnt vmcnt(0)
	buffer_store_dword v34, off, s[36:39], 0 offset:560 ; 4-byte Folded Spill
	buffer_store_dword v35, off, s[36:39], 0 offset:564 ; 4-byte Folded Spill
	;; [unrolled: 1-line block ×4, first 2 shown]
	ds_read_b128 v[0:3], v52 offset:62640
	ds_read_b128 v[111:114], v52 offset:15120
	;; [unrolled: 1-line block ×4, first 2 shown]
	s_waitcnt lgkmcnt(3)
	v_mul_f64 v[22:23], v[2:3], v[36:37]
	v_fma_f64 v[145:146], v[0:1], v[34:35], -v[22:23]
	v_mul_f64 v[0:1], v[0:1], v[36:37]
	v_add_f64 v[22:23], v[4:5], v[18:19]
	v_add_f64 v[36:37], v[28:29], v[32:33]
	v_fma_f64 v[147:148], v[2:3], v[34:35], v[0:1]
	ds_read_b128 v[0:3], v52
	v_add_f64 v[34:35], v[26:27], v[30:31]
	s_waitcnt lgkmcnt(0)
	v_fma_f64 v[24:25], v[24:25], -0.5, v[2:3]
	v_add_f64 v[2:3], v[2:3], v[6:7]
	v_fma_f64 v[22:23], v[22:23], -0.5, v[0:1]
	v_add_f64 v[0:1], v[0:1], v[4:5]
	v_add_f64 v[6:7], v[6:7], -v[20:21]
	v_add_f64 v[2:3], v[2:3], v[20:21]
	v_add_f64 v[20:21], v[4:5], -v[18:19]
	v_add_f64 v[0:1], v[0:1], v[18:19]
	v_fma_f64 v[4:5], v[6:7], s[8:9], v[22:23]
	v_fma_f64 v[18:19], v[6:7], s[6:7], v[22:23]
	v_fma_f64 v[6:7], v[20:21], s[6:7], v[24:25]
	v_fma_f64 v[20:21], v[20:21], s[8:9], v[24:25]
	ds_read_b128 v[22:25], v52 offset:2160
	s_waitcnt lgkmcnt(0)
	v_fma_f64 v[36:37], v[36:37], -0.5, v[24:25]
	v_add_f64 v[24:25], v[24:25], v[28:29]
	v_fma_f64 v[34:35], v[34:35], -0.5, v[22:23]
	v_add_f64 v[22:23], v[22:23], v[26:27]
	v_add_f64 v[28:29], v[28:29], -v[32:33]
	v_add_f64 v[24:25], v[24:25], v[32:33]
	v_add_f64 v[32:33], v[26:27], -v[30:31]
	v_add_f64 v[22:23], v[22:23], v[30:31]
	v_fma_f64 v[26:27], v[28:29], s[8:9], v[34:35]
	v_fma_f64 v[30:31], v[28:29], s[6:7], v[34:35]
	v_fma_f64 v[28:29], v[32:33], s[6:7], v[36:37]
	v_fma_f64 v[32:33], v[32:33], s[8:9], v[36:37]
	ds_read_b128 v[34:37], v52 offset:4320
	;; [unrolled: 14-line block ×5, first 2 shown]
	s_waitcnt lgkmcnt(0)
	v_fma_f64 v[92:93], v[92:93], -0.5, v[82:83]
	v_fma_f64 v[94:95], v[94:95], -0.5, v[84:85]
	v_add_f64 v[84:85], v[84:85], v[86:87]
	v_add_f64 v[82:83], v[82:83], v[73:74]
	v_add_f64 v[73:74], v[73:74], -v[88:89]
	v_fma_f64 v[86:87], v[96:97], s[8:9], v[92:93]
	v_add_f64 v[84:85], v[84:85], v[90:91]
	v_add_f64 v[82:83], v[82:83], v[88:89]
	v_fma_f64 v[90:91], v[96:97], s[6:7], v[92:93]
	v_fma_f64 v[88:89], v[73:74], s[6:7], v[94:95]
	;; [unrolled: 1-line block ×3, first 2 shown]
	v_add_f64 v[73:74], v[98:99], v[102:103]
	ds_read_b128 v[94:97], v52 offset:12960
	s_waitcnt lgkmcnt(0)
	v_fma_f64 v[109:110], v[106:107], -0.5, v[96:97]
	v_fma_f64 v[73:74], v[73:74], -0.5, v[94:95]
	v_add_f64 v[96:97], v[96:97], v[100:101]
	v_add_f64 v[94:95], v[94:95], v[98:99]
	v_add_f64 v[100:101], v[100:101], -v[104:105]
	v_add_f64 v[96:97], v[96:97], v[104:105]
	v_add_f64 v[94:95], v[94:95], v[102:103]
	v_add_f64 v[102:103], v[98:99], -v[102:103]
	v_fma_f64 v[98:99], v[100:101], s[8:9], v[73:74]
	v_fma_f64 v[107:108], v[100:101], s[6:7], v[73:74]
	v_add_f64 v[73:74], v[115:116], v[119:120]
	v_add_f64 v[104:105], v[113:114], v[117:118]
	v_fma_f64 v[100:101], v[102:103], s[6:7], v[109:110]
	v_fma_f64 v[109:110], v[102:103], s[8:9], v[109:110]
	v_add_f64 v[102:103], v[117:118], v[121:122]
	v_fma_f64 v[73:74], v[73:74], -0.5, v[111:112]
	v_add_f64 v[111:112], v[111:112], v[115:116]
	v_add_f64 v[117:118], v[117:118], -v[121:122]
	v_fma_f64 v[102:103], v[102:103], -0.5, v[113:114]
	v_add_f64 v[113:114], v[104:105], v[121:122]
	v_add_f64 v[111:112], v[111:112], v[119:120]
	v_add_f64 v[104:105], v[115:116], -v[119:120]
	v_fma_f64 v[115:116], v[117:118], s[8:9], v[73:74]
	v_fma_f64 v[119:120], v[117:118], s[6:7], v[73:74]
	v_add_f64 v[73:74], v[127:128], v[131:132]
	v_fma_f64 v[117:118], v[104:105], s[6:7], v[102:103]
	v_fma_f64 v[121:122], v[104:105], s[8:9], v[102:103]
	v_add_f64 v[102:103], v[129:130], v[133:134]
	v_fma_f64 v[73:74], v[73:74], -0.5, v[123:124]
	v_add_f64 v[104:105], v[125:126], v[129:130]
	v_add_f64 v[123:124], v[123:124], v[127:128]
	v_add_f64 v[129:130], v[129:130], -v[133:134]
	v_fma_f64 v[102:103], v[102:103], -0.5, v[125:126]
	v_add_f64 v[125:126], v[104:105], v[133:134]
	v_add_f64 v[123:124], v[123:124], v[131:132]
	v_add_f64 v[104:105], v[127:128], -v[131:132]
	v_fma_f64 v[127:128], v[129:130], s[8:9], v[73:74]
	v_fma_f64 v[131:132], v[129:130], s[6:7], v[73:74]
	v_add_f64 v[73:74], v[139:140], v[145:146]
	v_fma_f64 v[129:130], v[104:105], s[6:7], v[102:103]
	v_fma_f64 v[133:134], v[104:105], s[8:9], v[102:103]
	v_add_f64 v[102:103], v[141:142], v[147:148]
	v_fma_f64 v[73:74], v[73:74], -0.5, v[135:136]
	v_add_f64 v[104:105], v[137:138], v[141:142]
	v_add_f64 v[135:136], v[135:136], v[139:140]
	v_add_f64 v[141:142], v[141:142], -v[147:148]
	v_fma_f64 v[102:103], v[102:103], -0.5, v[137:138]
	v_add_f64 v[137:138], v[104:105], v[147:148]
	v_add_f64 v[135:136], v[135:136], v[145:146]
	v_add_f64 v[104:105], v[139:140], -v[145:146]
	v_fma_f64 v[139:140], v[141:142], s[8:9], v[73:74]
	v_fma_f64 v[145:146], v[141:142], s[6:7], v[73:74]
	v_mov_b32_e32 v73, 0x96
	v_mul_u32_u24_sdwa v50, v50, v73 dst_sel:DWORD dst_unused:UNUSED_PAD src0_sel:WORD_0 src1_sel:DWORD
	v_add_lshl_u32 v50, v50, v149, 4
	buffer_store_dword v50, off, s[36:39], 0 offset:556 ; 4-byte Folded Spill
	s_waitcnt_vscnt null, 0x0
	s_barrier
	buffer_gl0_inv
	ds_write_b128 v50, v[0:3]
	ds_write_b128 v50, v[4:7] offset:800
	ds_write_b128 v50, v[18:21] offset:1600
	v_mad_u16 v0, 0x96, v150, v151
	v_fma_f64 v[141:142], v[104:105], s[6:7], v[102:103]
	v_fma_f64 v[147:148], v[104:105], s[8:9], v[102:103]
	v_lshlrev_b32_sdwa v0, v78, v0 dst_sel:DWORD dst_unused:UNUSED_PAD src0_sel:DWORD src1_sel:WORD_0
	buffer_store_dword v0, off, s[36:39], 0 offset:552 ; 4-byte Folded Spill
	ds_write_b128 v0, v[22:25]
	ds_write_b128 v0, v[26:29] offset:800
	ds_write_b128 v0, v[30:33] offset:1600
	v_mad_u16 v0, 0x96, v152, v153
	v_mov_b32_e32 v32, 0xda75
	v_lshlrev_b32_sdwa v0, v78, v0 dst_sel:DWORD dst_unused:UNUSED_PAD src0_sel:DWORD src1_sel:WORD_0
	v_mul_u32_u24_sdwa v17, v17, v32 dst_sel:DWORD dst_unused:UNUSED_PAD src0_sel:WORD_0 src1_sel:DWORD
	v_mul_u32_u24_sdwa v16, v16, v32 dst_sel:DWORD dst_unused:UNUSED_PAD src0_sel:WORD_0 src1_sel:DWORD
	;; [unrolled: 1-line block ×4, first 2 shown]
	buffer_store_dword v0, off, s[36:39], 0 offset:548 ; 4-byte Folded Spill
	ds_write_b128 v0, v[34:37]
	ds_write_b128 v0, v[38:41] offset:800
	ds_write_b128 v0, v[42:45] offset:1600
	v_mad_u16 v0, 0x96, v154, v155
	v_mul_u32_u24_sdwa v13, v13, v32 dst_sel:DWORD dst_unused:UNUSED_PAD src0_sel:WORD_0 src1_sel:DWORD
	v_lshrrev_b32_e32 v150, 22, v14
	v_mul_u32_u24_sdwa v11, v11, v32 dst_sel:DWORD dst_unused:UNUSED_PAD src0_sel:WORD_0 src1_sel:DWORD
	v_mul_u32_u24_sdwa v10, v10, v32 dst_sel:DWORD dst_unused:UNUSED_PAD src0_sel:WORD_0 src1_sel:DWORD
	v_lshlrev_b32_sdwa v0, v78, v0 dst_sel:DWORD dst_unused:UNUSED_PAD src0_sel:DWORD src1_sel:WORD_0
	v_lshrrev_b32_e32 v152, 22, v13
	v_mul_lo_u16 v14, 0x96, v150
	v_lshrrev_b32_e32 v154, 22, v11
	v_mul_u32_u24_sdwa v9, v9, v32 dst_sel:DWORD dst_unused:UNUSED_PAD src0_sel:WORD_0 src1_sel:DWORD
	buffer_store_dword v0, off, s[36:39], 0 offset:544 ; 4-byte Folded Spill
	ds_write_b128 v0, v[46:49]
	ds_write_b128 v0, v[53:56] offset:800
	ds_write_b128 v0, v[57:60] offset:1600
	v_mad_u16 v0, 0x96, v156, v157
	v_sub_nc_u16 v151, v51, v14
	v_mul_lo_u16 v13, 0x96, v152
	v_mul_lo_u16 v11, 0x96, v154
	v_lshrrev_b32_e32 v156, 22, v10
	v_lshlrev_b32_sdwa v0, v78, v0 dst_sel:DWORD dst_unused:UNUSED_PAD src0_sel:DWORD src1_sel:WORD_0
	v_lshlrev_b16 v14, 5, v151
	v_sub_nc_u16 v153, v81, v13
	v_sub_nc_u16 v155, v80, v11
	v_mul_lo_u16 v10, 0x96, v156
	buffer_store_dword v0, off, s[36:39], 0 offset:540 ; 4-byte Folded Spill
	ds_write_b128 v0, v[61:64]
	ds_write_b128 v0, v[65:68] offset:800
	ds_write_b128 v0, v[69:72] offset:1600
	v_mad_u16 v0, 0x96, v158, v159
	v_and_b32_e32 v14, 0xffff, v14
	v_lshlrev_b16 v13, 5, v153
	v_lshlrev_b16 v11, 5, v155
	v_sub_nc_u16 v157, v79, v10
	v_lshlrev_b32_sdwa v0, v78, v0 dst_sel:DWORD dst_unused:UNUSED_PAD src0_sel:DWORD src1_sel:WORD_0
	v_lshrrev_b32_e32 v9, 22, v9
	v_and_b32_e32 v13, 0xffff, v13
	v_and_b32_e32 v11, 0xffff, v11
	v_lshlrev_b16 v10, 5, v157
	buffer_store_dword v0, off, s[36:39], 0 offset:536 ; 4-byte Folded Spill
	ds_write_b128 v0, v[82:85]
	ds_write_b128 v0, v[86:89] offset:800
	ds_write_b128 v0, v[90:93] offset:1600
	v_mad_u16 v0, 0x96, v160, v161
	v_mul_lo_u16 v9, 0x96, v9
	v_and_b32_e32 v10, 0xffff, v10
	v_lshlrev_b32_sdwa v0, v78, v0 dst_sel:DWORD dst_unused:UNUSED_PAD src0_sel:DWORD src1_sel:WORD_0
	v_sub_nc_u16 v158, v77, v9
	buffer_store_dword v0, off, s[36:39], 0 offset:532 ; 4-byte Folded Spill
	ds_write_b128 v0, v[94:97]
	ds_write_b128 v0, v[98:101] offset:800
	ds_write_b128 v0, v[107:110] offset:1600
	v_mad_u16 v0, 0x96, v162, v163
	v_lshlrev_b16 v9, 5, v158
	v_lshlrev_b32_sdwa v0, v78, v0 dst_sel:DWORD dst_unused:UNUSED_PAD src0_sel:DWORD src1_sel:WORD_0
	v_and_b32_e32 v9, 0xffff, v9
	buffer_store_dword v0, off, s[36:39], 0 offset:528 ; 4-byte Folded Spill
	ds_write_b128 v0, v[111:114]
	ds_write_b128 v0, v[115:118] offset:800
	ds_write_b128 v0, v[119:122] offset:1600
	v_mad_u16 v0, 0x96, v164, v165
	v_lshlrev_b32_sdwa v0, v78, v0 dst_sel:DWORD dst_unused:UNUSED_PAD src0_sel:DWORD src1_sel:WORD_0
	buffer_store_dword v0, off, s[36:39], 0 offset:524 ; 4-byte Folded Spill
	ds_write_b128 v0, v[123:126]
	ds_write_b128 v0, v[127:130] offset:800
	ds_write_b128 v0, v[131:134] offset:1600
	v_mad_u16 v0, 0x96, v166, v167
	v_lshlrev_b32_sdwa v0, v78, v0 dst_sel:DWORD dst_unused:UNUSED_PAD src0_sel:DWORD src1_sel:WORD_0
	buffer_store_dword v0, off, s[36:39], 0 offset:520 ; 4-byte Folded Spill
	ds_write_b128 v0, v[135:138]
	ds_write_b128 v0, v[139:142] offset:800
	ds_write_b128 v0, v[145:148] offset:1600
	v_lshlrev_b32_e32 v0, 5, v168
	s_waitcnt lgkmcnt(0)
	s_waitcnt_vscnt null, 0x0
	s_barrier
	buffer_gl0_inv
	v_lshrrev_b32_e32 v146, 22, v16
	v_add_co_u32 v82, s30, s10, v0
	v_add_co_ci_u32_e64 v83, null, s11, 0, s30
	v_mul_lo_u16 v16, 0x96, v146
	v_add_co_u32 v0, vcc_lo, 0x800, v82
	v_add_co_ci_u32_e32 v1, vcc_lo, 0, v83, vcc_lo
	v_sub_nc_u16 v147, v76, v16
	v_lshrrev_b32_e32 v148, 22, v15
	global_load_dwordx4 v[18:21], v[0:1], off offset:192
	s_waitcnt vmcnt(0)
	buffer_store_dword v18, off, s[36:39], 0 offset:488 ; 4-byte Folded Spill
	buffer_store_dword v19, off, s[36:39], 0 offset:492 ; 4-byte Folded Spill
	;; [unrolled: 1-line block ×4, first 2 shown]
	ds_read_b128 v[2:5], v52 offset:21600
	v_lshlrev_b16 v16, 5, v147
	v_mul_lo_u16 v15, 0x96, v148
	v_and_b32_e32 v16, 0xffff, v16
	v_sub_nc_u16 v149, v75, v15
	v_lshlrev_b16 v15, 5, v149
	v_and_b32_e32 v15, 0xffff, v15
	s_waitcnt lgkmcnt(0)
	v_mul_f64 v[0:1], v[4:5], v[20:21]
	v_fma_f64 v[0:1], v[2:3], v[18:19], -v[0:1]
	v_mul_f64 v[2:3], v[2:3], v[20:21]
	v_fma_f64 v[2:3], v[4:5], v[18:19], v[2:3]
	v_add_co_u32 v4, vcc_lo, 0x8c0, v82
	v_add_co_ci_u32_e32 v5, vcc_lo, 0, v83, vcc_lo
	v_cmp_gt_u16_e32 vcc_lo, 15, v144
	global_load_dwordx4 v[22:25], v[4:5], off offset:16
	s_waitcnt vmcnt(0)
	buffer_store_dword v22, off, s[36:39], 0 offset:504 ; 4-byte Folded Spill
	buffer_store_dword v23, off, s[36:39], 0 offset:508 ; 4-byte Folded Spill
	;; [unrolled: 1-line block ×4, first 2 shown]
	ds_read_b128 v[18:21], v52 offset:43200
	buffer_store_dword v168, off, s[36:39], 0 offset:884 ; 4-byte Folded Spill
	s_waitcnt lgkmcnt(0)
	v_mul_f64 v[4:5], v[20:21], v[24:25]
	v_mul_f64 v[6:7], v[18:19], v[24:25]
	v_fma_f64 v[4:5], v[18:19], v[22:23], -v[4:5]
	v_add_co_ci_u32_e64 v18, null, 0, 0, s29
	v_add_co_u32 v19, s29, v168, -15
	v_fma_f64 v[6:7], v[20:21], v[22:23], v[6:7]
	v_add_co_ci_u32_e64 v20, null, 0, -1, s29
	v_cndmask_b32_e32 v49, v19, v8, vcc_lo
	v_cndmask_b32_e32 v50, v20, v18, vcc_lo
	v_lshlrev_b64 v[18:19], 5, v[49:50]
	v_lshrrev_b32_e32 v50, 22, v17
	v_add_co_u32 v26, vcc_lo, s10, v18
	v_add_co_ci_u32_e32 v27, vcc_lo, s11, v19, vcc_lo
	v_mul_lo_u16 v17, 0x96, v50
	v_add_co_u32 v18, vcc_lo, 0x800, v26
	v_add_co_ci_u32_e32 v19, vcc_lo, 0, v27, vcc_lo
	v_sub_nc_u16 v145, v12, v17
	global_load_dwordx4 v[28:31], v[18:19], off offset:192
	s_waitcnt vmcnt(0)
	buffer_store_dword v28, off, s[36:39], 0 offset:1572 ; 4-byte Folded Spill
	buffer_store_dword v29, off, s[36:39], 0 offset:1576 ; 4-byte Folded Spill
	;; [unrolled: 1-line block ×4, first 2 shown]
	ds_read_b128 v[18:21], v52 offset:23760
	v_lshlrev_b16 v17, 5, v145
	v_and_b32_e32 v17, 0xffff, v17
	s_waitcnt lgkmcnt(0)
	v_mul_f64 v[22:23], v[20:21], v[30:31]
	v_fma_f64 v[22:23], v[18:19], v[28:29], -v[22:23]
	v_mul_f64 v[18:19], v[18:19], v[30:31]
	v_fma_f64 v[24:25], v[20:21], v[28:29], v[18:19]
	v_add_co_u32 v18, vcc_lo, 0x8c0, v26
	v_add_co_ci_u32_e32 v19, vcc_lo, 0, v27, vcc_lo
	global_load_dwordx4 v[28:31], v[18:19], off offset:16
	s_waitcnt vmcnt(0)
	buffer_store_dword v28, off, s[36:39], 0 offset:1428 ; 4-byte Folded Spill
	buffer_store_dword v29, off, s[36:39], 0 offset:1432 ; 4-byte Folded Spill
	buffer_store_dword v30, off, s[36:39], 0 offset:1436 ; 4-byte Folded Spill
	buffer_store_dword v31, off, s[36:39], 0 offset:1440 ; 4-byte Folded Spill
	ds_read_b128 v[18:21], v52 offset:45360
	s_waitcnt lgkmcnt(0)
	v_mul_f64 v[26:27], v[20:21], v[30:31]
	v_fma_f64 v[26:27], v[18:19], v[28:29], -v[26:27]
	v_mul_f64 v[18:19], v[18:19], v[30:31]
	v_fma_f64 v[28:29], v[20:21], v[28:29], v[18:19]
	v_add_co_u32 v21, s29, s10, v17
	v_add_co_ci_u32_e64 v37, null, s11, 0, s29
	v_add_co_u32 v17, vcc_lo, 0x800, v21
	v_add_co_ci_u32_e32 v18, vcc_lo, 0, v37, vcc_lo
	global_load_dwordx4 v[38:41], v[17:18], off offset:192
	s_waitcnt vmcnt(0)
	buffer_store_dword v38, off, s[36:39], 0 offset:1508 ; 4-byte Folded Spill
	buffer_store_dword v39, off, s[36:39], 0 offset:1512 ; 4-byte Folded Spill
	;; [unrolled: 1-line block ×4, first 2 shown]
	ds_read_b128 v[17:20], v52 offset:25920
	s_waitcnt lgkmcnt(0)
	v_mul_f64 v[30:31], v[19:20], v[40:41]
	v_fma_f64 v[33:34], v[17:18], v[38:39], -v[30:31]
	v_mul_f64 v[17:18], v[17:18], v[40:41]
	v_fma_f64 v[35:36], v[19:20], v[38:39], v[17:18]
	v_add_co_u32 v17, vcc_lo, 0x8c0, v21
	v_add_co_ci_u32_e32 v18, vcc_lo, 0, v37, vcc_lo
	global_load_dwordx4 v[39:42], v[17:18], off offset:16
	s_waitcnt vmcnt(0)
	buffer_store_dword v39, off, s[36:39], 0 offset:1588 ; 4-byte Folded Spill
	buffer_store_dword v40, off, s[36:39], 0 offset:1592 ; 4-byte Folded Spill
	;; [unrolled: 1-line block ×4, first 2 shown]
	ds_read_b128 v[17:20], v52 offset:47520
	s_waitcnt lgkmcnt(0)
	v_mul_f64 v[30:31], v[19:20], v[41:42]
	v_fma_f64 v[37:38], v[17:18], v[39:40], -v[30:31]
	v_mul_f64 v[17:18], v[17:18], v[41:42]
	v_add_co_u32 v30, s29, s10, v16
	v_add_co_ci_u32_e64 v31, null, s11, 0, s29
	v_add_co_u32 v16, vcc_lo, 0x800, v30
	v_fma_f64 v[39:40], v[19:20], v[39:40], v[17:18]
	v_add_co_ci_u32_e32 v17, vcc_lo, 0, v31, vcc_lo
	global_load_dwordx4 v[41:44], v[16:17], off offset:192
	s_waitcnt vmcnt(0)
	buffer_store_dword v41, off, s[36:39], 0 offset:1604 ; 4-byte Folded Spill
	buffer_store_dword v42, off, s[36:39], 0 offset:1608 ; 4-byte Folded Spill
	;; [unrolled: 1-line block ×4, first 2 shown]
	ds_read_b128 v[16:19], v52 offset:28080
	s_waitcnt lgkmcnt(0)
	v_mul_f64 v[20:21], v[18:19], v[43:44]
	v_fma_f64 v[45:46], v[16:17], v[41:42], -v[20:21]
	v_mul_f64 v[16:17], v[16:17], v[43:44]
	v_fma_f64 v[47:48], v[18:19], v[41:42], v[16:17]
	v_add_co_u32 v16, vcc_lo, 0x8c0, v30
	v_add_co_ci_u32_e32 v17, vcc_lo, 0, v31, vcc_lo
	global_load_dwordx4 v[41:44], v[16:17], off offset:16
	s_waitcnt vmcnt(0)
	buffer_store_dword v41, off, s[36:39], 0 offset:1444 ; 4-byte Folded Spill
	buffer_store_dword v42, off, s[36:39], 0 offset:1448 ; 4-byte Folded Spill
	;; [unrolled: 1-line block ×4, first 2 shown]
	ds_read_b128 v[16:19], v52 offset:49680
	s_waitcnt lgkmcnt(0)
	v_mul_f64 v[20:21], v[18:19], v[43:44]
	v_fma_f64 v[53:54], v[16:17], v[41:42], -v[20:21]
	v_mul_f64 v[16:17], v[16:17], v[43:44]
	v_add_co_u32 v21, s29, s10, v15
	v_add_co_ci_u32_e64 v30, null, s11, 0, s29
	v_add_co_u32 v15, vcc_lo, 0x800, v21
	v_add_f64 v[57:58], v[45:46], v[53:54]
	v_fma_f64 v[55:56], v[18:19], v[41:42], v[16:17]
	v_add_co_ci_u32_e32 v16, vcc_lo, 0, v30, vcc_lo
	global_load_dwordx4 v[41:44], v[15:16], off offset:192
	s_waitcnt vmcnt(0)
	buffer_store_dword v41, off, s[36:39], 0 offset:1524 ; 4-byte Folded Spill
	buffer_store_dword v42, off, s[36:39], 0 offset:1528 ; 4-byte Folded Spill
	;; [unrolled: 1-line block ×4, first 2 shown]
	ds_read_b128 v[15:18], v52 offset:30240
	v_add_f64 v[59:60], v[47:48], v[55:56]
	s_waitcnt lgkmcnt(0)
	v_mul_f64 v[19:20], v[17:18], v[43:44]
	v_fma_f64 v[61:62], v[15:16], v[41:42], -v[19:20]
	v_mul_f64 v[15:16], v[15:16], v[43:44]
	v_fma_f64 v[63:64], v[17:18], v[41:42], v[15:16]
	v_add_co_u32 v15, vcc_lo, 0x8c0, v21
	v_add_co_ci_u32_e32 v16, vcc_lo, 0, v30, vcc_lo
	v_add_f64 v[30:31], v[22:23], v[26:27]
	global_load_dwordx4 v[41:44], v[15:16], off offset:16
	s_waitcnt vmcnt(0)
	buffer_store_dword v41, off, s[36:39], 0 offset:1620 ; 4-byte Folded Spill
	buffer_store_dword v42, off, s[36:39], 0 offset:1624 ; 4-byte Folded Spill
	;; [unrolled: 1-line block ×4, first 2 shown]
	ds_read_b128 v[15:18], v52 offset:51840
	s_waitcnt lgkmcnt(0)
	v_mul_f64 v[19:20], v[17:18], v[43:44]
	v_fma_f64 v[65:66], v[15:16], v[41:42], -v[19:20]
	v_mul_f64 v[15:16], v[15:16], v[43:44]
	v_add_co_u32 v20, s29, s10, v14
	v_add_co_ci_u32_e64 v21, null, s11, 0, s29
	v_add_co_u32 v14, vcc_lo, 0x800, v20
	v_add_f64 v[69:70], v[61:62], v[65:66]
	v_fma_f64 v[67:68], v[17:18], v[41:42], v[15:16]
	v_add_co_ci_u32_e32 v15, vcc_lo, 0, v21, vcc_lo
	global_load_dwordx4 v[41:44], v[14:15], off offset:192
	s_waitcnt vmcnt(0)
	buffer_store_dword v41, off, s[36:39], 0 offset:1636 ; 4-byte Folded Spill
	buffer_store_dword v42, off, s[36:39], 0 offset:1640 ; 4-byte Folded Spill
	;; [unrolled: 1-line block ×4, first 2 shown]
	ds_read_b128 v[14:17], v52 offset:32400
	v_add_f64 v[71:72], v[63:64], v[67:68]
	s_waitcnt lgkmcnt(0)
	v_mul_f64 v[18:19], v[16:17], v[43:44]
	v_fma_f64 v[73:74], v[14:15], v[41:42], -v[18:19]
	v_mul_f64 v[14:15], v[14:15], v[43:44]
	v_fma_f64 v[84:85], v[16:17], v[41:42], v[14:15]
	v_add_co_u32 v14, vcc_lo, 0x8c0, v20
	v_add_co_ci_u32_e32 v15, vcc_lo, 0, v21, vcc_lo
	global_load_dwordx4 v[41:44], v[14:15], off offset:16
	s_waitcnt vmcnt(0)
	buffer_store_dword v41, off, s[36:39], 0 offset:1460 ; 4-byte Folded Spill
	buffer_store_dword v42, off, s[36:39], 0 offset:1464 ; 4-byte Folded Spill
	;; [unrolled: 1-line block ×4, first 2 shown]
	ds_read_b128 v[14:17], v52 offset:54000
	s_waitcnt lgkmcnt(0)
	v_mul_f64 v[18:19], v[16:17], v[43:44]
	v_fma_f64 v[86:87], v[14:15], v[41:42], -v[18:19]
	v_mul_f64 v[14:15], v[14:15], v[43:44]
	v_add_co_u32 v19, s29, s10, v13
	v_add_co_ci_u32_e64 v20, null, s11, 0, s29
	v_add_co_u32 v11, s29, s10, v11
	v_add_co_u32 v13, vcc_lo, 0x800, v19
	v_add_f64 v[90:91], v[73:74], v[86:87]
	v_fma_f64 v[88:89], v[16:17], v[41:42], v[14:15]
	v_add_co_ci_u32_e32 v14, vcc_lo, 0, v20, vcc_lo
	global_load_dwordx4 v[41:44], v[13:14], off offset:192
	s_waitcnt vmcnt(0)
	buffer_store_dword v41, off, s[36:39], 0 offset:1540 ; 4-byte Folded Spill
	buffer_store_dword v42, off, s[36:39], 0 offset:1544 ; 4-byte Folded Spill
	;; [unrolled: 1-line block ×4, first 2 shown]
	ds_read_b128 v[13:16], v52 offset:34560
	v_add_f64 v[92:93], v[84:85], v[88:89]
	v_add_f64 v[94:95], v[84:85], -v[88:89]
	s_waitcnt lgkmcnt(0)
	v_mul_f64 v[17:18], v[15:16], v[43:44]
	v_fma_f64 v[96:97], v[13:14], v[41:42], -v[17:18]
	v_mul_f64 v[13:14], v[13:14], v[43:44]
	v_fma_f64 v[98:99], v[15:16], v[41:42], v[13:14]
	v_add_co_u32 v13, vcc_lo, 0x8c0, v19
	v_add_co_ci_u32_e32 v14, vcc_lo, 0, v20, vcc_lo
	v_add_co_ci_u32_e64 v19, null, s11, 0, s29
	global_load_dwordx4 v[41:44], v[13:14], off offset:16
	s_waitcnt vmcnt(0)
	buffer_store_dword v41, off, s[36:39], 0 offset:1652 ; 4-byte Folded Spill
	buffer_store_dword v42, off, s[36:39], 0 offset:1656 ; 4-byte Folded Spill
	;; [unrolled: 1-line block ×4, first 2 shown]
	ds_read_b128 v[13:16], v52 offset:56160
	s_waitcnt lgkmcnt(0)
	v_mul_f64 v[17:18], v[15:16], v[43:44]
	v_fma_f64 v[100:101], v[13:14], v[41:42], -v[17:18]
	v_mul_f64 v[13:14], v[13:14], v[43:44]
	v_fma_f64 v[102:103], v[15:16], v[41:42], v[13:14]
	v_add_co_u32 v13, vcc_lo, 0x800, v11
	v_add_co_ci_u32_e32 v14, vcc_lo, 0, v19, vcc_lo
	global_load_dwordx4 v[41:44], v[13:14], off offset:192
	s_waitcnt vmcnt(0)
	buffer_store_dword v41, off, s[36:39], 0 offset:1668 ; 4-byte Folded Spill
	buffer_store_dword v42, off, s[36:39], 0 offset:1672 ; 4-byte Folded Spill
	;; [unrolled: 1-line block ×4, first 2 shown]
	ds_read_b128 v[13:16], v52 offset:36720
	v_add_f64 v[106:107], v[98:99], v[102:103]
	s_waitcnt lgkmcnt(0)
	v_mul_f64 v[17:18], v[15:16], v[43:44]
	v_fma_f64 v[104:105], v[13:14], v[41:42], -v[17:18]
	v_mul_f64 v[13:14], v[13:14], v[43:44]
	v_fma_f64 v[111:112], v[15:16], v[41:42], v[13:14]
	v_add_co_u32 v13, vcc_lo, 0x8c0, v11
	v_add_co_ci_u32_e32 v14, vcc_lo, 0, v19, vcc_lo
	global_load_dwordx4 v[41:44], v[13:14], off offset:16
	s_waitcnt vmcnt(0)
	buffer_store_dword v41, off, s[36:39], 0 offset:1476 ; 4-byte Folded Spill
	buffer_store_dword v42, off, s[36:39], 0 offset:1480 ; 4-byte Folded Spill
	buffer_store_dword v43, off, s[36:39], 0 offset:1484 ; 4-byte Folded Spill
	buffer_store_dword v44, off, s[36:39], 0 offset:1488 ; 4-byte Folded Spill
	ds_read_b128 v[13:16], v52 offset:58320
	s_waitcnt lgkmcnt(0)
	v_mul_f64 v[17:18], v[15:16], v[43:44]
	v_fma_f64 v[113:114], v[13:14], v[41:42], -v[17:18]
	v_mul_f64 v[13:14], v[13:14], v[43:44]
	v_add_co_u32 v17, s29, s10, v10
	v_add_co_ci_u32_e64 v18, null, s11, 0, s29
	v_add_co_u32 v9, s29, s10, v9
	v_add_co_u32 v10, vcc_lo, 0x800, v17
	v_add_co_ci_u32_e32 v11, vcc_lo, 0, v18, vcc_lo
	v_add_co_ci_u32_e64 v19, null, s11, 0, s29
	v_fma_f64 v[115:116], v[15:16], v[41:42], v[13:14]
	global_load_dwordx4 v[41:44], v[10:11], off offset:192
	s_waitcnt vmcnt(0)
	buffer_store_dword v41, off, s[36:39], 0 offset:1556 ; 4-byte Folded Spill
	buffer_store_dword v42, off, s[36:39], 0 offset:1560 ; 4-byte Folded Spill
	buffer_store_dword v43, off, s[36:39], 0 offset:1564 ; 4-byte Folded Spill
	buffer_store_dword v44, off, s[36:39], 0 offset:1568 ; 4-byte Folded Spill
	ds_read_b128 v[13:16], v52 offset:38880
	v_add_f64 v[117:118], v[111:112], v[115:116]
	v_add_f64 v[119:120], v[111:112], -v[115:116]
	s_waitcnt lgkmcnt(0)
	v_mul_f64 v[10:11], v[15:16], v[43:44]
	v_fma_f64 v[10:11], v[13:14], v[41:42], -v[10:11]
	v_mul_f64 v[13:14], v[13:14], v[43:44]
	v_fma_f64 v[123:124], v[15:16], v[41:42], v[13:14]
	v_add_co_u32 v13, vcc_lo, 0x8c0, v17
	v_add_co_ci_u32_e32 v14, vcc_lo, 0, v18, vcc_lo
	global_load_dwordx4 v[41:44], v[13:14], off offset:16
	s_waitcnt vmcnt(0)
	buffer_store_dword v41, off, s[36:39], 0 offset:1684 ; 4-byte Folded Spill
	buffer_store_dword v42, off, s[36:39], 0 offset:1688 ; 4-byte Folded Spill
	;; [unrolled: 1-line block ×4, first 2 shown]
	ds_read_b128 v[13:16], v52 offset:60480
	s_waitcnt lgkmcnt(0)
	v_mul_f64 v[17:18], v[15:16], v[43:44]
	v_fma_f64 v[125:126], v[13:14], v[41:42], -v[17:18]
	v_mul_f64 v[13:14], v[13:14], v[43:44]
	v_fma_f64 v[127:128], v[15:16], v[41:42], v[13:14]
	v_add_co_u32 v13, vcc_lo, 0x800, v9
	v_add_co_ci_u32_e32 v14, vcc_lo, 0, v19, vcc_lo
	global_load_dwordx4 v[41:44], v[13:14], off offset:192
	s_waitcnt vmcnt(0)
	buffer_store_dword v41, off, s[36:39], 0 offset:1700 ; 4-byte Folded Spill
	buffer_store_dword v42, off, s[36:39], 0 offset:1704 ; 4-byte Folded Spill
	;; [unrolled: 1-line block ×4, first 2 shown]
	ds_read_b128 v[13:16], v52 offset:41040
	v_add_f64 v[129:130], v[123:124], -v[127:128]
	s_waitcnt lgkmcnt(0)
	v_mul_f64 v[17:18], v[15:16], v[43:44]
	v_fma_f64 v[135:136], v[13:14], v[41:42], -v[17:18]
	v_mul_f64 v[13:14], v[13:14], v[43:44]
	v_fma_f64 v[137:138], v[15:16], v[41:42], v[13:14]
	v_add_co_u32 v13, vcc_lo, 0x8c0, v9
	v_add_co_ci_u32_e32 v14, vcc_lo, 0, v19, vcc_lo
	v_add_f64 v[19:20], v[2:3], v[6:7]
	v_cmp_lt_u16_e32 vcc_lo, 14, v144
	global_load_dwordx4 v[41:44], v[13:14], off offset:16
	s_waitcnt vmcnt(0)
	buffer_store_dword v41, off, s[36:39], 0 offset:1492 ; 4-byte Folded Spill
	buffer_store_dword v42, off, s[36:39], 0 offset:1496 ; 4-byte Folded Spill
	;; [unrolled: 1-line block ×4, first 2 shown]
	ds_read_b128 v[13:16], v52 offset:62640
	ds_read_b128 v[131:134], v52 offset:19440
	s_waitcnt lgkmcnt(1)
	v_mul_f64 v[17:18], v[15:16], v[43:44]
	v_fma_f64 v[139:140], v[13:14], v[41:42], -v[17:18]
	v_mul_f64 v[13:14], v[13:14], v[43:44]
	v_add_f64 v[17:18], v[0:1], v[4:5]
	v_add_f64 v[43:44], v[35:36], v[39:40]
	v_fma_f64 v[141:142], v[15:16], v[41:42], v[13:14]
	ds_read_b128 v[13:16], v52
	v_add_f64 v[41:42], v[24:25], v[28:29]
	s_waitcnt lgkmcnt(0)
	v_fma_f64 v[19:20], v[19:20], -0.5, v[15:16]
	v_add_f64 v[15:16], v[15:16], v[2:3]
	v_fma_f64 v[17:18], v[17:18], -0.5, v[13:14]
	v_add_f64 v[13:14], v[13:14], v[0:1]
	v_add_f64 v[2:3], v[2:3], -v[6:7]
	v_add_f64 v[15:16], v[15:16], v[6:7]
	v_add_f64 v[6:7], v[0:1], -v[4:5]
	v_add_f64 v[13:14], v[13:14], v[4:5]
	v_fma_f64 v[0:1], v[2:3], s[8:9], v[17:18]
	v_fma_f64 v[4:5], v[2:3], s[6:7], v[17:18]
	;; [unrolled: 1-line block ×4, first 2 shown]
	ds_read_b128 v[17:20], v52 offset:2160
	s_waitcnt lgkmcnt(0)
	v_fma_f64 v[30:31], v[30:31], -0.5, v[17:18]
	v_fma_f64 v[41:42], v[41:42], -0.5, v[19:20]
	v_add_f64 v[19:20], v[19:20], v[24:25]
	v_add_f64 v[17:18], v[17:18], v[22:23]
	v_add_f64 v[24:25], v[24:25], -v[28:29]
	v_add_f64 v[19:20], v[19:20], v[28:29]
	v_add_f64 v[17:18], v[17:18], v[26:27]
	v_add_f64 v[27:28], v[22:23], -v[26:27]
	v_fma_f64 v[21:22], v[24:25], s[8:9], v[30:31]
	v_fma_f64 v[25:26], v[24:25], s[6:7], v[30:31]
	ds_read_b128 v[29:32], v52 offset:4320
	v_fma_f64 v[23:24], v[27:28], s[6:7], v[41:42]
	v_fma_f64 v[27:28], v[27:28], s[8:9], v[41:42]
	v_add_f64 v[41:42], v[33:34], v[37:38]
	s_waitcnt lgkmcnt(0)
	v_fma_f64 v[43:44], v[43:44], -0.5, v[31:32]
	v_add_f64 v[31:32], v[31:32], v[35:36]
	v_add_f64 v[35:36], v[35:36], -v[39:40]
	v_fma_f64 v[41:42], v[41:42], -0.5, v[29:30]
	v_add_f64 v[29:30], v[29:30], v[33:34]
	v_add_f64 v[31:32], v[31:32], v[39:40]
	v_add_f64 v[39:40], v[33:34], -v[37:38]
	v_fma_f64 v[33:34], v[35:36], s[8:9], v[41:42]
	v_add_f64 v[29:30], v[29:30], v[37:38]
	v_fma_f64 v[37:38], v[35:36], s[6:7], v[41:42]
	v_fma_f64 v[35:36], v[39:40], s[6:7], v[43:44]
	v_fma_f64 v[39:40], v[39:40], s[8:9], v[43:44]
	ds_read_b128 v[41:44], v52 offset:6480
	s_waitcnt lgkmcnt(0)
	v_fma_f64 v[59:60], v[59:60], -0.5, v[43:44]
	v_add_f64 v[43:44], v[43:44], v[47:48]
	v_fma_f64 v[57:58], v[57:58], -0.5, v[41:42]
	v_add_f64 v[41:42], v[41:42], v[45:46]
	v_add_f64 v[47:48], v[47:48], -v[55:56]
	v_add_f64 v[43:44], v[43:44], v[55:56]
	v_add_f64 v[55:56], v[45:46], -v[53:54]
	v_add_f64 v[41:42], v[41:42], v[53:54]
	v_fma_f64 v[45:46], v[47:48], s[8:9], v[57:58]
	v_fma_f64 v[53:54], v[47:48], s[6:7], v[57:58]
	;; [unrolled: 1-line block ×4, first 2 shown]
	ds_read_b128 v[57:60], v52 offset:8640
	s_waitcnt lgkmcnt(0)
	v_fma_f64 v[71:72], v[71:72], -0.5, v[59:60]
	v_add_f64 v[59:60], v[59:60], v[63:64]
	v_fma_f64 v[69:70], v[69:70], -0.5, v[57:58]
	v_add_f64 v[57:58], v[57:58], v[61:62]
	v_add_f64 v[63:64], v[63:64], -v[67:68]
	v_add_f64 v[59:60], v[59:60], v[67:68]
	v_add_f64 v[67:68], v[61:62], -v[65:66]
	v_add_f64 v[57:58], v[57:58], v[65:66]
	v_fma_f64 v[61:62], v[63:64], s[8:9], v[69:70]
	v_fma_f64 v[65:66], v[63:64], s[6:7], v[69:70]
	;; [unrolled: 1-line block ×4, first 2 shown]
	ds_read_b128 v[69:72], v52 offset:10800
	s_waitcnt lgkmcnt(0)
	v_fma_f64 v[90:91], v[90:91], -0.5, v[69:70]
	v_fma_f64 v[92:93], v[92:93], -0.5, v[71:72]
	v_add_f64 v[71:72], v[71:72], v[84:85]
	v_add_f64 v[69:70], v[69:70], v[73:74]
	v_add_f64 v[73:74], v[73:74], -v[86:87]
	v_fma_f64 v[84:85], v[94:95], s[8:9], v[90:91]
	v_add_f64 v[71:72], v[71:72], v[88:89]
	v_add_f64 v[69:70], v[69:70], v[86:87]
	v_fma_f64 v[88:89], v[94:95], s[6:7], v[90:91]
	v_fma_f64 v[86:87], v[73:74], s[6:7], v[92:93]
	;; [unrolled: 1-line block ×3, first 2 shown]
	ds_read_b128 v[92:95], v52 offset:12960
	v_add_f64 v[73:74], v[96:97], v[100:101]
	s_waitcnt lgkmcnt(0)
	v_fma_f64 v[106:107], v[106:107], -0.5, v[94:95]
	v_add_f64 v[94:95], v[94:95], v[98:99]
	v_add_f64 v[98:99], v[98:99], -v[102:103]
	v_fma_f64 v[73:74], v[73:74], -0.5, v[92:93]
	v_add_f64 v[92:93], v[92:93], v[96:97]
	v_add_f64 v[94:95], v[94:95], v[102:103]
	v_add_f64 v[102:103], v[96:97], -v[100:101]
	v_fma_f64 v[96:97], v[98:99], s[8:9], v[73:74]
	v_add_f64 v[92:93], v[92:93], v[100:101]
	v_fma_f64 v[100:101], v[98:99], s[6:7], v[73:74]
	v_add_f64 v[73:74], v[104:105], v[113:114]
	v_fma_f64 v[98:99], v[102:103], s[6:7], v[106:107]
	v_fma_f64 v[102:103], v[102:103], s[8:9], v[106:107]
	ds_read_b128 v[107:110], v52 offset:15120
	s_waitcnt lgkmcnt(0)
	v_fma_f64 v[73:74], v[73:74], -0.5, v[107:108]
	v_fma_f64 v[117:118], v[117:118], -0.5, v[109:110]
	v_add_f64 v[109:110], v[109:110], v[111:112]
	v_add_f64 v[106:107], v[107:108], v[104:105]
	v_add_f64 v[104:105], v[104:105], -v[113:114]
	v_fma_f64 v[111:112], v[119:120], s[8:9], v[73:74]
	v_add_f64 v[109:110], v[109:110], v[115:116]
	v_add_f64 v[107:108], v[106:107], v[113:114]
	v_fma_f64 v[115:116], v[119:120], s[6:7], v[73:74]
	v_fma_f64 v[113:114], v[104:105], s[6:7], v[117:118]
	;; [unrolled: 1-line block ×3, first 2 shown]
	v_add_f64 v[73:74], v[10:11], v[125:126]
	v_add_f64 v[104:105], v[123:124], v[127:128]
	ds_read_b128 v[119:122], v52 offset:17280
	s_waitcnt lgkmcnt(0)
	s_waitcnt_vscnt null, 0x0
	s_barrier
	buffer_gl0_inv
	ds_write_b128 v52, v[13:16]
	ds_write_b128 v52, v[0:3] offset:2400
	ds_write_b128 v52, v[4:7] offset:4800
	v_cndmask_b32_e64 v0, 0, 0x1c2, vcc_lo
	v_add_lshl_u32 v0, v49, v0, 4
	buffer_store_dword v0, off, s[36:39], 0 offset:1424 ; 4-byte Folded Spill
	ds_write_b128 v0, v[17:20]
	ds_write_b128 v0, v[21:24] offset:2400
	ds_write_b128 v0, v[25:28] offset:4800
	v_mad_u16 v0, 0x1c2, v50, v145
	v_fma_f64 v[73:74], v[73:74], -0.5, v[119:120]
	v_fma_f64 v[104:105], v[104:105], -0.5, v[121:122]
	v_add_f64 v[121:122], v[121:122], v[123:124]
	v_add_f64 v[119:120], v[119:120], v[10:11]
	v_add_f64 v[9:10], v[10:11], -v[125:126]
	v_lshlrev_b32_sdwa v0, v78, v0 dst_sel:DWORD dst_unused:UNUSED_PAD src0_sel:DWORD src1_sel:WORD_0
	buffer_store_dword v0, off, s[36:39], 0 offset:1420 ; 4-byte Folded Spill
	ds_write_b128 v0, v[29:32]
	ds_write_b128 v0, v[33:36] offset:2400
	ds_write_b128 v0, v[37:40] offset:4800
	v_mad_u16 v0, 0x1c2, v146, v147
	v_lshlrev_b32_sdwa v0, v78, v0 dst_sel:DWORD dst_unused:UNUSED_PAD src0_sel:DWORD src1_sel:WORD_0
	v_fma_f64 v[123:124], v[129:130], s[8:9], v[73:74]
	buffer_store_dword v0, off, s[36:39], 0 offset:1416 ; 4-byte Folded Spill
	v_add_f64 v[121:122], v[121:122], v[127:128]
	v_add_f64 v[119:120], v[119:120], v[125:126]
	v_fma_f64 v[127:128], v[129:130], s[6:7], v[73:74]
	v_fma_f64 v[125:126], v[9:10], s[6:7], v[104:105]
	;; [unrolled: 1-line block ×3, first 2 shown]
	v_add_f64 v[9:10], v[135:136], v[139:140]
	v_add_f64 v[73:74], v[137:138], v[141:142]
	;; [unrolled: 1-line block ×3, first 2 shown]
	ds_write_b128 v0, v[41:44]
	ds_write_b128 v0, v[45:48] offset:2400
	ds_write_b128 v0, v[53:56] offset:4800
	v_mad_u16 v0, 0x1c2, v148, v149
	v_add_f64 v[137:138], v[137:138], -v[141:142]
	v_lshlrev_b32_sdwa v0, v78, v0 dst_sel:DWORD dst_unused:UNUSED_PAD src0_sel:DWORD src1_sel:WORD_0
	buffer_store_dword v0, off, s[36:39], 0 offset:1412 ; 4-byte Folded Spill
	ds_write_b128 v0, v[57:60]
	ds_write_b128 v0, v[61:64] offset:2400
	ds_write_b128 v0, v[65:68] offset:4800
	v_mad_u16 v0, 0x1c2, v150, v151
	v_lshlrev_b32_sdwa v0, v78, v0 dst_sel:DWORD dst_unused:UNUSED_PAD src0_sel:DWORD src1_sel:WORD_0
	v_fma_f64 v[9:10], v[9:10], -0.5, v[131:132]
	v_add_f64 v[131:132], v[131:132], v[135:136]
	v_fma_f64 v[73:74], v[73:74], -0.5, v[133:134]
	v_add_f64 v[133:134], v[104:105], v[141:142]
	v_add_f64 v[104:105], v[135:136], -v[139:140]
	buffer_store_dword v0, off, s[36:39], 0 offset:1408 ; 4-byte Folded Spill
	ds_write_b128 v0, v[69:72]
	ds_write_b128 v0, v[84:87] offset:2400
	ds_write_b128 v0, v[88:91] offset:4800
	v_mad_u16 v0, 0x1c2, v152, v153
	v_mov_b32_e32 v71, 0x91a3
	v_lshlrev_b32_sdwa v0, v78, v0 dst_sel:DWORD dst_unused:UNUSED_PAD src0_sel:DWORD src1_sel:WORD_0
	buffer_store_dword v0, off, s[36:39], 0 offset:1404 ; 4-byte Folded Spill
	ds_write_b128 v0, v[92:95]
	ds_write_b128 v0, v[96:99] offset:2400
	ds_write_b128 v0, v[100:103] offset:4800
	v_mad_u16 v0, 0x1c2, v154, v155
	v_fma_f64 v[135:136], v[137:138], s[8:9], v[9:10]
	v_add_f64 v[131:132], v[131:132], v[139:140]
	v_fma_f64 v[139:140], v[137:138], s[6:7], v[9:10]
	v_lshlrev_b32_sdwa v0, v78, v0 dst_sel:DWORD dst_unused:UNUSED_PAD src0_sel:DWORD src1_sel:WORD_0
	v_fma_f64 v[137:138], v[104:105], s[6:7], v[73:74]
	v_fma_f64 v[141:142], v[104:105], s[8:9], v[73:74]
	buffer_store_dword v0, off, s[36:39], 0 offset:1400 ; 4-byte Folded Spill
	ds_write_b128 v0, v[107:110]
	ds_write_b128 v0, v[111:114] offset:2400
	ds_write_b128 v0, v[115:118] offset:4800
	v_mad_u16 v0, 0x1c2, v156, v157
	v_lshlrev_b32_sdwa v0, v78, v0 dst_sel:DWORD dst_unused:UNUSED_PAD src0_sel:DWORD src1_sel:WORD_0
	buffer_store_dword v0, off, s[36:39], 0 offset:1396 ; 4-byte Folded Spill
	ds_write_b128 v0, v[119:122]
	ds_write_b128 v0, v[123:126] offset:2400
	ds_write_b128 v0, v[127:130] offset:4800
	v_lshlrev_b32_sdwa v0, v78, v158 dst_sel:DWORD dst_unused:UNUSED_PAD src0_sel:DWORD src1_sel:WORD_0
	buffer_store_dword v0, off, s[36:39], 0 offset:1392 ; 4-byte Folded Spill
	ds_write_b128 v0, v[131:134] offset:57600
	ds_write_b128 v0, v[135:138] offset:60000
	;; [unrolled: 1-line block ×3, first 2 shown]
	v_add_co_u32 v0, vcc_lo, 0x1800, v82
	v_add_co_ci_u32_e32 v1, vcc_lo, 0, v83, vcc_lo
	s_waitcnt lgkmcnt(0)
	s_waitcnt_vscnt null, 0x0
	s_barrier
	buffer_gl0_inv
	global_load_dwordx4 v[18:21], v[0:1], off offset:896
	s_waitcnt vmcnt(0)
	buffer_store_dword v18, off, s[36:39], 0 offset:1360 ; 4-byte Folded Spill
	buffer_store_dword v19, off, s[36:39], 0 offset:1364 ; 4-byte Folded Spill
	;; [unrolled: 1-line block ×4, first 2 shown]
	ds_read_b128 v[0:3], v52 offset:21600
	s_waitcnt lgkmcnt(0)
	v_mul_f64 v[4:5], v[2:3], v[20:21]
	v_fma_f64 v[16:17], v[0:1], v[18:19], -v[4:5]
	v_mul_f64 v[0:1], v[0:1], v[20:21]
	v_fma_f64 v[18:19], v[2:3], v[18:19], v[0:1]
	v_add_co_u32 v0, vcc_lo, 0x1b80, v82
	v_add_co_ci_u32_e32 v1, vcc_lo, 0, v83, vcc_lo
	global_load_dwordx4 v[22:25], v[0:1], off offset:16
	s_waitcnt vmcnt(0)
	buffer_store_dword v22, off, s[36:39], 0 offset:1376 ; 4-byte Folded Spill
	buffer_store_dword v23, off, s[36:39], 0 offset:1380 ; 4-byte Folded Spill
	;; [unrolled: 1-line block ×4, first 2 shown]
	ds_read_b128 v[0:3], v52 offset:43200
	s_waitcnt lgkmcnt(0)
	v_mul_f64 v[4:5], v[2:3], v[24:25]
	v_fma_f64 v[20:21], v[0:1], v[22:23], -v[4:5]
	v_mul_f64 v[0:1], v[0:1], v[24:25]
	v_fma_f64 v[22:23], v[2:3], v[22:23], v[0:1]
	v_lshlrev_b32_e32 v0, 5, v8
	v_add_co_u32 v86, s29, s10, v0
	v_add_co_ci_u32_e64 v87, null, s11, 0, s29
	v_add_co_u32 v0, vcc_lo, 0x1800, v86
	v_add_co_ci_u32_e32 v1, vcc_lo, 0, v87, vcc_lo
	global_load_dwordx4 v[8:11], v[0:1], off offset:896
	s_waitcnt vmcnt(0)
	buffer_store_dword v8, off, s[36:39], 0 offset:1344 ; 4-byte Folded Spill
	buffer_store_dword v9, off, s[36:39], 0 offset:1348 ; 4-byte Folded Spill
	;; [unrolled: 1-line block ×4, first 2 shown]
	ds_read_b128 v[4:7], v52 offset:23760
	v_add_f64 v[99:100], v[18:19], v[22:23]
	s_waitcnt lgkmcnt(0)
	v_mul_f64 v[0:1], v[6:7], v[10:11]
	v_fma_f64 v[2:3], v[4:5], v[8:9], -v[0:1]
	v_mul_f64 v[0:1], v[4:5], v[10:11]
	v_fma_f64 v[8:9], v[6:7], v[8:9], v[0:1]
	v_add_co_u32 v0, vcc_lo, 0x1b80, v86
	v_add_co_ci_u32_e32 v1, vcc_lo, 0, v87, vcc_lo
	global_load_dwordx4 v[24:27], v[0:1], off offset:16
	s_waitcnt vmcnt(0)
	buffer_store_dword v24, off, s[36:39], 0 offset:1296 ; 4-byte Folded Spill
	buffer_store_dword v25, off, s[36:39], 0 offset:1300 ; 4-byte Folded Spill
	;; [unrolled: 1-line block ×4, first 2 shown]
	ds_read_b128 v[4:7], v52 offset:45360
	s_waitcnt lgkmcnt(0)
	v_mul_f64 v[0:1], v[6:7], v[26:27]
	v_fma_f64 v[10:11], v[4:5], v[24:25], -v[0:1]
	v_mul_f64 v[0:1], v[4:5], v[26:27]
	v_add_f64 v[107:108], v[2:3], v[10:11]
	v_fma_f64 v[14:15], v[6:7], v[24:25], v[0:1]
	v_lshlrev_b32_e32 v0, 5, v12
	v_add_co_u32 v84, s29, s10, v0
	v_add_co_ci_u32_e64 v85, null, s11, 0, s29
	v_add_co_u32 v0, vcc_lo, 0x1800, v84
	v_add_co_ci_u32_e32 v1, vcc_lo, 0, v85, vcc_lo
	global_load_dwordx4 v[24:27], v[0:1], off offset:896
	s_waitcnt vmcnt(0)
	buffer_store_dword v24, off, s[36:39], 0 offset:1312 ; 4-byte Folded Spill
	buffer_store_dword v25, off, s[36:39], 0 offset:1316 ; 4-byte Folded Spill
	;; [unrolled: 1-line block ×4, first 2 shown]
	ds_read_b128 v[4:7], v52 offset:25920
	v_add_f64 v[109:110], v[8:9], v[14:15]
	v_add_f64 v[111:112], v[8:9], -v[14:15]
	s_waitcnt lgkmcnt(0)
	v_mul_f64 v[0:1], v[6:7], v[26:27]
	v_fma_f64 v[0:1], v[4:5], v[24:25], -v[0:1]
	v_mul_f64 v[4:5], v[4:5], v[26:27]
	v_fma_f64 v[4:5], v[6:7], v[24:25], v[4:5]
	v_add_co_u32 v6, vcc_lo, 0x1b80, v84
	v_add_co_ci_u32_e32 v7, vcc_lo, 0, v85, vcc_lo
	v_cmp_gt_u16_e32 vcc_lo, 45, v144
	global_load_dwordx4 v[28:31], v[6:7], off offset:16
	s_waitcnt vmcnt(0)
	buffer_store_dword v28, off, s[36:39], 0 offset:1328 ; 4-byte Folded Spill
	buffer_store_dword v29, off, s[36:39], 0 offset:1332 ; 4-byte Folded Spill
	buffer_store_dword v30, off, s[36:39], 0 offset:1336 ; 4-byte Folded Spill
	buffer_store_dword v31, off, s[36:39], 0 offset:1340 ; 4-byte Folded Spill
	ds_read_b128 v[24:27], v52 offset:47520
	s_waitcnt lgkmcnt(0)
	v_mul_f64 v[6:7], v[26:27], v[30:31]
	v_mul_f64 v[12:13], v[24:25], v[30:31]
	ds_read_b128 v[31:34], v52 offset:28080
	v_fma_f64 v[6:7], v[24:25], v[28:29], -v[6:7]
	v_fma_f64 v[12:13], v[26:27], v[28:29], v[12:13]
	v_add_co_ci_u32_e64 v24, null, 0, 0, s28
	v_add_co_u32 v26, s28, 0xffffffd3, v168
	v_add_co_ci_u32_e64 v25, null, 0, -1, s28
	v_cndmask_b32_e32 v25, v25, v24, vcc_lo
	v_cndmask_b32_e32 v24, v26, v76, vcc_lo
	v_lshlrev_b64 v[25:26], 5, v[24:25]
	v_add_co_u32 v29, vcc_lo, s10, v25
	v_add_co_ci_u32_e32 v30, vcc_lo, s11, v26, vcc_lo
	v_add_co_u32 v25, vcc_lo, 0x1800, v29
	v_add_co_ci_u32_e32 v26, vcc_lo, 0, v30, vcc_lo
	;; [unrolled: 2-line block ×3, first 2 shown]
	global_load_dwordx4 v[35:38], v[25:26], off offset:896
	s_waitcnt vmcnt(0)
	buffer_store_dword v35, off, s[36:39], 0 offset:1716 ; 4-byte Folded Spill
	buffer_store_dword v36, off, s[36:39], 0 offset:1720 ; 4-byte Folded Spill
	;; [unrolled: 1-line block ×4, first 2 shown]
	global_load_dwordx4 v[39:42], v[29:30], off offset:16
	s_waitcnt lgkmcnt(0)
	v_mul_f64 v[25:26], v[33:34], v[37:38]
	v_mul_f64 v[27:28], v[31:32], v[37:38]
	v_fma_f64 v[25:26], v[31:32], v[35:36], -v[25:26]
	ds_read_b128 v[29:32], v52 offset:49680
	v_fma_f64 v[27:28], v[33:34], v[35:36], v[27:28]
	s_waitcnt vmcnt(0) lgkmcnt(0)
	v_mul_f64 v[33:34], v[31:32], v[41:42]
	v_fma_f64 v[37:38], v[29:30], v[39:40], -v[33:34]
	buffer_store_dword v39, off, s[36:39], 0 offset:1732 ; 4-byte Folded Spill
	buffer_store_dword v40, off, s[36:39], 0 offset:1736 ; 4-byte Folded Spill
	;; [unrolled: 1-line block ×4, first 2 shown]
	v_mul_f64 v[29:30], v[29:30], v[41:42]
	v_fma_f64 v[39:40], v[31:32], v[39:40], v[29:30]
	v_add_co_u32 v29, vcc_lo, 0x2000, v82
	v_add_co_ci_u32_e32 v30, vcc_lo, 0, v83, vcc_lo
	global_load_dwordx4 v[41:44], v[29:30], off offset:1728
	s_waitcnt vmcnt(0)
	buffer_store_dword v41, off, s[36:39], 0 offset:1748 ; 4-byte Folded Spill
	buffer_store_dword v42, off, s[36:39], 0 offset:1752 ; 4-byte Folded Spill
	buffer_store_dword v43, off, s[36:39], 0 offset:1756 ; 4-byte Folded Spill
	buffer_store_dword v44, off, s[36:39], 0 offset:1760 ; 4-byte Folded Spill
	ds_read_b128 v[29:32], v52 offset:30240
	s_waitcnt lgkmcnt(0)
	v_mul_f64 v[33:34], v[31:32], v[43:44]
	v_fma_f64 v[33:34], v[29:30], v[41:42], -v[33:34]
	v_mul_f64 v[29:30], v[29:30], v[43:44]
	v_fma_f64 v[35:36], v[31:32], v[41:42], v[29:30]
	v_add_co_u32 v29, vcc_lo, 0x26c0, v82
	v_add_co_ci_u32_e32 v30, vcc_lo, 0, v83, vcc_lo
	global_load_dwordx4 v[43:46], v[29:30], off offset:16
	s_waitcnt vmcnt(0)
	buffer_store_dword v43, off, s[36:39], 0 offset:1764 ; 4-byte Folded Spill
	buffer_store_dword v44, off, s[36:39], 0 offset:1768 ; 4-byte Folded Spill
	;; [unrolled: 1-line block ×4, first 2 shown]
	ds_read_b128 v[29:32], v52 offset:51840
	s_waitcnt lgkmcnt(0)
	v_mul_f64 v[41:42], v[31:32], v[45:46]
	v_fma_f64 v[41:42], v[29:30], v[43:44], -v[41:42]
	v_mul_f64 v[29:30], v[29:30], v[45:46]
	v_fma_f64 v[47:48], v[31:32], v[43:44], v[29:30]
	v_add_co_u32 v29, vcc_lo, 0x3000, v82
	v_add_co_ci_u32_e32 v30, vcc_lo, 0, v83, vcc_lo
	ds_read_b128 v[43:46], v52 offset:32400
	global_load_dwordx4 v[53:56], v[29:30], off offset:1952
	s_waitcnt vmcnt(0) lgkmcnt(0)
	v_mul_f64 v[29:30], v[45:46], v[55:56]
	v_fma_f64 v[29:30], v[43:44], v[53:54], -v[29:30]
	buffer_store_dword v53, off, s[36:39], 0 offset:1780 ; 4-byte Folded Spill
	buffer_store_dword v54, off, s[36:39], 0 offset:1784 ; 4-byte Folded Spill
	;; [unrolled: 1-line block ×4, first 2 shown]
	v_mul_f64 v[31:32], v[43:44], v[55:56]
	v_add_co_u32 v43, vcc_lo, 0x37a0, v82
	v_add_co_ci_u32_e32 v44, vcc_lo, 0, v83, vcc_lo
	global_load_dwordx4 v[57:60], v[43:44], off offset:16
	v_fma_f64 v[31:32], v[45:46], v[53:54], v[31:32]
	ds_read_b128 v[53:56], v52 offset:54000
	s_waitcnt vmcnt(0)
	buffer_store_dword v57, off, s[36:39], 0 offset:1796 ; 4-byte Folded Spill
	buffer_store_dword v58, off, s[36:39], 0 offset:1800 ; 4-byte Folded Spill
	;; [unrolled: 1-line block ×4, first 2 shown]
	s_waitcnt lgkmcnt(0)
	v_mul_f64 v[43:44], v[55:56], v[59:60]
	v_fma_f64 v[45:46], v[53:54], v[57:58], -v[43:44]
	v_mul_f64 v[43:44], v[53:54], v[59:60]
	v_fma_f64 v[53:54], v[55:56], v[57:58], v[43:44]
	v_mul_u32_u24_sdwa v43, v81, v71 dst_sel:DWORD dst_unused:UNUSED_PAD src0_sel:WORD_0 src1_sel:DWORD
	v_lshrrev_b32_e32 v88, 24, v43
	v_mul_lo_u16 v43, 0x1c2, v88
	v_sub_nc_u16 v89, v81, v43
	v_lshlrev_b16 v43, 5, v89
	v_and_b32_e32 v43, 0xffff, v43
	v_add_co_u32 v59, s28, s10, v43
	v_add_co_ci_u32_e64 v60, null, s11, 0, s28
	v_add_co_u32 v43, vcc_lo, 0x1800, v59
	v_add_co_ci_u32_e32 v44, vcc_lo, 0, v60, vcc_lo
	global_load_dwordx4 v[61:64], v[43:44], off offset:896
	s_waitcnt vmcnt(0)
	buffer_store_dword v61, off, s[36:39], 0 offset:1812 ; 4-byte Folded Spill
	buffer_store_dword v62, off, s[36:39], 0 offset:1816 ; 4-byte Folded Spill
	;; [unrolled: 1-line block ×4, first 2 shown]
	ds_read_b128 v[55:58], v52 offset:34560
	ds_read_b128 v[119:122], v52 offset:8640
	;; [unrolled: 1-line block ×5, first 2 shown]
	s_waitcnt lgkmcnt(4)
	v_mul_f64 v[43:44], v[57:58], v[63:64]
	v_mul_f64 v[49:50], v[55:56], v[63:64]
	v_fma_f64 v[43:44], v[55:56], v[61:62], -v[43:44]
	v_add_co_u32 v55, vcc_lo, 0x1b80, v59
	v_add_co_ci_u32_e32 v56, vcc_lo, 0, v60, vcc_lo
	v_fma_f64 v[49:50], v[57:58], v[61:62], v[49:50]
	ds_read_b128 v[59:62], v52 offset:56160
	global_load_dwordx4 v[248:251], v[55:56], off offset:16
	s_waitcnt vmcnt(0) lgkmcnt(0)
	v_mul_f64 v[55:56], v[61:62], v[250:251]
	v_fma_f64 v[57:58], v[59:60], v[248:249], -v[55:56]
	v_mul_f64 v[55:56], v[59:60], v[250:251]
	v_fma_f64 v[59:60], v[61:62], v[248:249], v[55:56]
	v_mul_u32_u24_sdwa v55, v80, v71 dst_sel:DWORD dst_unused:UNUSED_PAD src0_sel:WORD_0 src1_sel:DWORD
	ds_read_b128 v[61:64], v52 offset:36720
	v_lshrrev_b32_e32 v55, 24, v55
	v_mul_lo_u16 v55, 0x1c2, v55
	v_sub_nc_u16 v90, v80, v55
	v_lshlrev_b16 v55, 5, v90
	v_and_b32_e32 v55, 0xffff, v55
	v_add_co_u32 v65, s28, s10, v55
	v_add_co_ci_u32_e64 v66, null, s11, 0, s28
	v_add_co_u32 v55, vcc_lo, 0x1800, v65
	v_add_co_ci_u32_e32 v56, vcc_lo, 0, v66, vcc_lo
	global_load_dwordx4 v[244:247], v[55:56], off offset:896
	s_waitcnt vmcnt(0) lgkmcnt(0)
	v_mul_f64 v[55:56], v[63:64], v[246:247]
	v_fma_f64 v[73:74], v[61:62], v[244:245], -v[55:56]
	v_mul_f64 v[55:56], v[61:62], v[246:247]
	v_add_co_u32 v61, vcc_lo, 0x1b80, v65
	v_add_co_ci_u32_e32 v62, vcc_lo, 0, v66, vcc_lo
	ds_read_b128 v[65:68], v52 offset:58320
	global_load_dwordx4 v[240:243], v[61:62], off offset:16
	v_fma_f64 v[55:56], v[63:64], v[244:245], v[55:56]
	s_waitcnt vmcnt(0) lgkmcnt(0)
	v_mul_f64 v[61:62], v[67:68], v[242:243]
	v_fma_f64 v[63:64], v[65:66], v[240:241], -v[61:62]
	v_mul_f64 v[61:62], v[65:66], v[242:243]
	v_fma_f64 v[69:70], v[67:68], v[240:241], v[61:62]
	v_mul_u32_u24_sdwa v61, v79, v71 dst_sel:DWORD dst_unused:UNUSED_PAD src0_sel:WORD_0 src1_sel:DWORD
	ds_read_b128 v[65:68], v52 offset:38880
	v_lshrrev_b32_e32 v61, 24, v61
	v_mul_lo_u16 v61, 0x1c2, v61
	v_sub_nc_u16 v91, v79, v61
	v_lshlrev_b16 v61, 5, v91
	v_and_b32_e32 v61, 0xffff, v61
	v_add_co_u32 v72, s28, s10, v61
	v_add_co_ci_u32_e64 v92, null, s11, 0, s28
	v_add_co_u32 v61, vcc_lo, 0x1800, v72
	v_add_co_ci_u32_e32 v62, vcc_lo, 0, v92, vcc_lo
	global_load_dwordx4 v[236:239], v[61:62], off offset:896
	s_waitcnt vmcnt(0) lgkmcnt(0)
	v_mul_f64 v[61:62], v[67:68], v[238:239]
	v_fma_f64 v[61:62], v[65:66], v[236:237], -v[61:62]
	v_mul_f64 v[65:66], v[65:66], v[238:239]
	v_fma_f64 v[65:66], v[67:68], v[236:237], v[65:66]
	v_add_co_u32 v67, vcc_lo, 0x1b80, v72
	v_add_co_ci_u32_e32 v68, vcc_lo, 0, v92, vcc_lo
	ds_read_b128 v[92:95], v52 offset:60480
	global_load_dwordx4 v[232:235], v[67:68], off offset:16
	s_waitcnt vmcnt(0) lgkmcnt(0)
	v_mul_f64 v[67:68], v[94:95], v[234:235]
	v_fma_f64 v[101:102], v[92:93], v[232:233], -v[67:68]
	v_mul_f64 v[67:68], v[92:93], v[234:235]
	v_fma_f64 v[103:104], v[94:95], v[232:233], v[67:68]
	v_mul_u32_u24_sdwa v67, v77, v71 dst_sel:DWORD dst_unused:UNUSED_PAD src0_sel:WORD_0 src1_sel:DWORD
	ds_read_b128 v[93:96], v52 offset:41040
	v_lshrrev_b32_e32 v67, 24, v67
	v_mul_lo_u16 v67, 0x1c2, v67
	v_sub_nc_u16 v92, v77, v67
	v_lshlrev_b16 v67, 5, v92
	v_and_b32_e32 v67, 0xffff, v67
	v_add_co_u32 v97, s28, s10, v67
	v_add_co_ci_u32_e64 v98, null, s11, 0, s28
	v_add_co_u32 v67, vcc_lo, 0x1800, v97
	v_add_co_ci_u32_e32 v68, vcc_lo, 0, v98, vcc_lo
	global_load_dwordx4 v[228:231], v[67:68], off offset:896
	s_waitcnt vmcnt(0) lgkmcnt(0)
	v_mul_f64 v[67:68], v[95:96], v[230:231]
	v_mul_f64 v[71:72], v[93:94], v[230:231]
	v_fma_f64 v[67:68], v[93:94], v[228:229], -v[67:68]
	v_add_co_u32 v93, vcc_lo, 0x1b80, v97
	v_add_co_ci_u32_e32 v94, vcc_lo, 0, v98, vcc_lo
	v_fma_f64 v[71:72], v[95:96], v[228:229], v[71:72]
	v_cmp_lt_u16_e32 vcc_lo, 44, v144
	global_load_dwordx4 v[224:227], v[93:94], off offset:16
	ds_read_b128 v[93:96], v52 offset:62640
	s_waitcnt vmcnt(0) lgkmcnt(0)
	v_mul_f64 v[97:98], v[95:96], v[226:227]
	v_fma_f64 v[105:106], v[93:94], v[224:225], -v[97:98]
	v_mul_f64 v[93:94], v[93:94], v[226:227]
	v_add_f64 v[97:98], v[16:17], v[20:21]
	v_fma_f64 v[157:158], v[95:96], v[224:225], v[93:94]
	ds_read_b128 v[93:96], v52
	s_waitcnt lgkmcnt(0)
	v_fma_f64 v[99:100], v[99:100], -0.5, v[95:96]
	v_add_f64 v[95:96], v[95:96], v[18:19]
	v_fma_f64 v[97:98], v[97:98], -0.5, v[93:94]
	v_add_f64 v[93:94], v[93:94], v[16:17]
	v_add_f64 v[18:19], v[18:19], -v[22:23]
	v_add_f64 v[95:96], v[95:96], v[22:23]
	v_add_f64 v[22:23], v[16:17], -v[20:21]
	v_add_f64 v[93:94], v[93:94], v[20:21]
	v_fma_f64 v[16:17], v[18:19], s[8:9], v[97:98]
	v_fma_f64 v[20:21], v[18:19], s[6:7], v[97:98]
	;; [unrolled: 1-line block ×4, first 2 shown]
	ds_read_b128 v[97:100], v52 offset:2160
	s_waitcnt lgkmcnt(0)
	v_fma_f64 v[107:108], v[107:108], -0.5, v[97:98]
	v_fma_f64 v[109:110], v[109:110], -0.5, v[99:100]
	v_add_f64 v[97:98], v[97:98], v[2:3]
	v_add_f64 v[2:3], v[2:3], -v[10:11]
	v_add_f64 v[99:100], v[99:100], v[8:9]
	v_fma_f64 v[8:9], v[111:112], s[8:9], v[107:108]
	v_fma_f64 v[107:108], v[111:112], s[6:7], v[107:108]
	v_add_f64 v[97:98], v[97:98], v[10:11]
	v_fma_f64 v[10:11], v[2:3], s[6:7], v[109:110]
	v_fma_f64 v[109:110], v[2:3], s[8:9], v[109:110]
	v_add_f64 v[2:3], v[0:1], v[6:7]
	ds_read_b128 v[111:114], v52 offset:4320
	v_add_f64 v[99:100], v[99:100], v[14:15]
	s_waitcnt lgkmcnt(0)
	v_fma_f64 v[14:15], v[2:3], -0.5, v[111:112]
	v_add_f64 v[2:3], v[4:5], v[12:13]
	v_add_f64 v[111:112], v[111:112], v[0:1]
	v_add_f64 v[0:1], v[0:1], -v[6:7]
	v_fma_f64 v[115:116], v[2:3], -0.5, v[113:114]
	v_add_f64 v[2:3], v[113:114], v[4:5]
	v_add_f64 v[113:114], v[4:5], -v[12:13]
	v_add_f64 v[4:5], v[2:3], v[12:13]
	v_add_f64 v[2:3], v[111:112], v[6:7]
	;; [unrolled: 1-line block ×3, first 2 shown]
	v_fma_f64 v[12:13], v[113:114], s[8:9], v[14:15]
	v_fma_f64 v[111:112], v[113:114], s[6:7], v[14:15]
	;; [unrolled: 1-line block ×4, first 2 shown]
	ds_read_b128 v[115:118], v52 offset:6480
	v_add_f64 v[0:1], v[25:26], v[37:38]
	s_waitcnt lgkmcnt(0)
	v_fma_f64 v[6:7], v[6:7], -0.5, v[117:118]
	v_add_f64 v[117:118], v[117:118], v[27:28]
	v_add_f64 v[27:28], v[27:28], -v[39:40]
	v_fma_f64 v[0:1], v[0:1], -0.5, v[115:116]
	v_add_f64 v[115:116], v[115:116], v[25:26]
	v_add_f64 v[117:118], v[117:118], v[39:40]
	v_add_f64 v[39:40], v[25:26], -v[37:38]
	v_fma_f64 v[25:26], v[27:28], s[8:9], v[0:1]
	v_add_f64 v[115:116], v[115:116], v[37:38]
	v_fma_f64 v[37:38], v[27:28], s[6:7], v[0:1]
	v_add_f64 v[0:1], v[33:34], v[41:42]
	v_fma_f64 v[27:28], v[39:40], s[6:7], v[6:7]
	v_fma_f64 v[39:40], v[39:40], s[8:9], v[6:7]
	v_add_f64 v[6:7], v[35:36], v[47:48]
	v_fma_f64 v[0:1], v[0:1], -0.5, v[119:120]
	v_add_f64 v[119:120], v[119:120], v[33:34]
	v_fma_f64 v[6:7], v[6:7], -0.5, v[121:122]
	v_add_f64 v[121:122], v[121:122], v[35:36]
	v_add_f64 v[35:36], v[35:36], -v[47:48]
	v_add_f64 v[119:120], v[119:120], v[41:42]
	v_add_f64 v[41:42], v[33:34], -v[41:42]
	v_add_f64 v[121:122], v[121:122], v[47:48]
	v_fma_f64 v[33:34], v[35:36], s[8:9], v[0:1]
	v_fma_f64 v[123:124], v[35:36], s[6:7], v[0:1]
	v_add_f64 v[0:1], v[29:30], v[45:46]
	v_fma_f64 v[35:36], v[41:42], s[6:7], v[6:7]
	v_fma_f64 v[125:126], v[41:42], s[8:9], v[6:7]
	v_add_f64 v[6:7], v[31:32], v[53:54]
	v_add_f64 v[41:42], v[129:130], v[31:32]
	;; [unrolled: 1-line block ×3, first 2 shown]
	v_add_f64 v[31:32], v[31:32], -v[53:54]
	v_fma_f64 v[0:1], v[0:1], -0.5, v[127:128]
	v_fma_f64 v[6:7], v[6:7], -0.5, v[129:130]
	v_add_f64 v[129:130], v[41:42], v[53:54]
	v_add_f64 v[41:42], v[29:30], -v[45:46]
	v_add_f64 v[127:128], v[47:48], v[45:46]
	v_add_f64 v[53:54], v[131:132], v[43:44]
	v_fma_f64 v[29:30], v[31:32], s[8:9], v[0:1]
	v_fma_f64 v[45:46], v[31:32], s[6:7], v[0:1]
	v_add_f64 v[0:1], v[43:44], v[57:58]
	v_fma_f64 v[31:32], v[41:42], s[6:7], v[6:7]
	v_fma_f64 v[47:48], v[41:42], s[8:9], v[6:7]
	v_add_f64 v[6:7], v[49:50], v[59:60]
	v_add_f64 v[41:42], v[133:134], v[49:50]
	v_add_f64 v[49:50], v[49:50], -v[59:60]
	v_fma_f64 v[0:1], v[0:1], -0.5, v[131:132]
	v_add_f64 v[131:132], v[53:54], v[57:58]
	v_add_f64 v[53:54], v[43:44], -v[57:58]
	v_fma_f64 v[6:7], v[6:7], -0.5, v[133:134]
	v_add_f64 v[133:134], v[41:42], v[59:60]
	v_fma_f64 v[41:42], v[49:50], s[8:9], v[0:1]
	v_fma_f64 v[57:58], v[49:50], s[6:7], v[0:1]
	v_add_f64 v[0:1], v[73:74], v[63:64]
	v_add_f64 v[49:50], v[137:138], v[55:56]
	v_fma_f64 v[43:44], v[53:54], s[6:7], v[6:7]
	v_fma_f64 v[59:60], v[53:54], s[8:9], v[6:7]
	v_add_f64 v[6:7], v[55:56], v[69:70]
	v_add_f64 v[53:54], v[135:136], v[73:74]
	v_add_f64 v[55:56], v[55:56], -v[69:70]
	v_fma_f64 v[0:1], v[0:1], -0.5, v[135:136]
	v_fma_f64 v[6:7], v[6:7], -0.5, v[137:138]
	v_add_f64 v[137:138], v[49:50], v[69:70]
	v_add_f64 v[49:50], v[73:74], -v[63:64]
	v_add_f64 v[135:136], v[53:54], v[63:64]
	v_fma_f64 v[139:140], v[55:56], s[8:9], v[0:1]
	v_fma_f64 v[145:146], v[55:56], s[6:7], v[0:1]
	ds_read_b128 v[53:56], v52 offset:17280
	v_add_f64 v[0:1], v[61:62], v[101:102]
	v_fma_f64 v[141:142], v[49:50], s[6:7], v[6:7]
	v_fma_f64 v[147:148], v[49:50], s[8:9], v[6:7]
	v_add_f64 v[6:7], v[65:66], v[103:104]
	s_waitcnt lgkmcnt(0)
	v_add_f64 v[49:50], v[55:56], v[65:66]
	v_fma_f64 v[0:1], v[0:1], -0.5, v[53:54]
	v_add_f64 v[53:54], v[53:54], v[61:62]
	v_fma_f64 v[6:7], v[6:7], -0.5, v[55:56]
	v_add_f64 v[55:56], v[65:66], -v[103:104]
	v_add_f64 v[65:66], v[49:50], v[103:104]
	v_add_f64 v[49:50], v[61:62], -v[101:102]
	v_add_f64 v[63:64], v[53:54], v[101:102]
	v_fma_f64 v[149:150], v[55:56], s[8:9], v[0:1]
	v_fma_f64 v[153:154], v[55:56], s[6:7], v[0:1]
	ds_read_b128 v[53:56], v52 offset:19440
	v_add_f64 v[0:1], v[67:68], v[105:106]
	s_waitcnt lgkmcnt(0)
	s_waitcnt_vscnt null, 0x0
	s_barrier
	buffer_gl0_inv
	ds_write_b128 v52, v[93:96]
	ds_write_b128 v52, v[16:19] offset:7200
	ds_write_b128 v52, v[20:23] offset:14400
	;; [unrolled: 1-line block ×8, first 2 shown]
	v_fma_f64 v[151:152], v[49:50], s[6:7], v[6:7]
	v_fma_f64 v[155:156], v[49:50], s[8:9], v[6:7]
	v_add_f64 v[6:7], v[71:72], v[157:158]
	v_add_f64 v[49:50], v[55:56], v[71:72]
	v_fma_f64 v[0:1], v[0:1], -0.5, v[53:54]
	v_add_f64 v[53:54], v[53:54], v[67:68]
	v_fma_f64 v[6:7], v[6:7], -0.5, v[55:56]
	v_add_f64 v[55:56], v[71:72], -v[157:158]
	v_add_f64 v[71:72], v[49:50], v[157:158]
	v_add_f64 v[49:50], v[67:68], -v[105:106]
	v_add_f64 v[69:70], v[53:54], v[105:106]
	v_fma_f64 v[157:158], v[55:56], s[8:9], v[0:1]
	v_fma_f64 v[161:162], v[55:56], s[6:7], v[0:1]
	v_cndmask_b32_e64 v0, 0, 0x546, vcc_lo
	v_add_lshl_u32 v0, v24, v0, 4
	v_fma_f64 v[159:160], v[49:50], s[6:7], v[6:7]
	v_fma_f64 v[163:164], v[49:50], s[8:9], v[6:7]
	buffer_store_dword v0, off, s[36:39], 0 offset:1844 ; 4-byte Folded Spill
	ds_write_b128 v0, v[115:118]
	ds_write_b128 v0, v[25:28] offset:7200
	ds_write_b128 v0, v[37:40] offset:14400
	ds_write_b128 v52, v[119:122] offset:23040
	ds_write_b128 v52, v[33:36] offset:30240
	ds_write_b128 v52, v[123:126] offset:37440
	ds_write_b128 v52, v[127:130] offset:25200
	ds_write_b128 v52, v[29:32] offset:32400
	ds_write_b128 v52, v[45:48] offset:39600
	v_mad_u16 v0, 0x546, v88, v89
	v_lshlrev_b32_sdwa v0, v78, v0 dst_sel:DWORD dst_unused:UNUSED_PAD src0_sel:DWORD src1_sel:WORD_0
	buffer_store_dword v0, off, s[36:39], 0 offset:1840 ; 4-byte Folded Spill
	ds_write_b128 v0, v[131:134]
	ds_write_b128 v0, v[41:44] offset:7200
	ds_write_b128 v0, v[57:60] offset:14400
	v_lshlrev_b32_sdwa v0, v78, v90 dst_sel:DWORD dst_unused:UNUSED_PAD src0_sel:DWORD src1_sel:WORD_0
	buffer_store_dword v0, off, s[36:39], 0 offset:1836 ; 4-byte Folded Spill
	ds_write_b128 v0, v[135:138] offset:43200
	ds_write_b128 v0, v[139:142] offset:50400
	ds_write_b128 v0, v[145:148] offset:57600
	v_lshlrev_b32_sdwa v0, v78, v91 dst_sel:DWORD dst_unused:UNUSED_PAD src0_sel:DWORD src1_sel:WORD_0
	buffer_store_dword v0, off, s[36:39], 0 offset:1832 ; 4-byte Folded Spill
	ds_write_b128 v0, v[63:66] offset:43200
	;; [unrolled: 5-line block ×3, first 2 shown]
	ds_write_b128 v0, v[157:160] offset:50400
	ds_write_b128 v0, v[161:164] offset:57600
	v_add_co_u32 v0, vcc_lo, 0x5000, v82
	v_add_co_ci_u32_e32 v1, vcc_lo, 0, v83, vcc_lo
	s_waitcnt lgkmcnt(0)
	s_waitcnt_vscnt null, 0x0
	s_barrier
	buffer_gl0_inv
	global_load_dwordx4 v[130:133], v[0:1], off offset:960
	ds_read_b128 v[4:7], v52 offset:21600
	ds_read_b128 v[12:15], v52 offset:25920
	;; [unrolled: 1-line block ×8, first 2 shown]
	s_waitcnt vmcnt(0) lgkmcnt(7)
	v_mul_f64 v[0:1], v[6:7], v[132:133]
	v_fma_f64 v[2:3], v[4:5], v[130:131], -v[0:1]
	v_mul_f64 v[0:1], v[4:5], v[132:133]
	v_fma_f64 v[24:25], v[6:7], v[130:131], v[0:1]
	v_add_co_u32 v0, vcc_lo, 0x53c0, v82
	v_add_co_ci_u32_e32 v1, vcc_lo, 0, v83, vcc_lo
	global_load_dwordx4 v[216:219], v[0:1], off offset:16
	s_waitcnt vmcnt(0) lgkmcnt(5)
	v_mul_f64 v[0:1], v[10:11], v[218:219]
	v_fma_f64 v[16:17], v[8:9], v[216:217], -v[0:1]
	v_mul_f64 v[0:1], v[8:9], v[218:219]
	v_fma_f64 v[20:21], v[10:11], v[216:217], v[0:1]
	v_add_co_u32 v0, vcc_lo, 0x5000, v86
	v_add_co_ci_u32_e32 v1, vcc_lo, 0, v87, vcc_lo
	ds_read_b128 v[8:11], v52 offset:23760
	global_load_dwordx4 v[220:223], v[0:1], off offset:960
	s_waitcnt vmcnt(0) lgkmcnt(0)
	v_mul_f64 v[4:5], v[8:9], v[222:223]
	v_fma_f64 v[18:19], v[10:11], v[220:221], v[4:5]
	v_add_co_u32 v4, vcc_lo, 0x53c0, v86
	v_add_co_ci_u32_e32 v5, vcc_lo, 0, v87, vcc_lo
	ds_read_b128 v[86:89], v52 offset:2160
	global_load_dwordx4 v[212:215], v[4:5], off offset:16
	v_mul_f64 v[0:1], v[10:11], v[222:223]
	v_fma_f64 v[0:1], v[8:9], v[220:221], -v[0:1]
	ds_read_b128 v[8:11], v52 offset:45360
	s_waitcnt vmcnt(0) lgkmcnt(0)
	v_mul_f64 v[4:5], v[10:11], v[214:215]
	v_fma_f64 v[92:93], v[8:9], v[212:213], -v[4:5]
	v_mul_f64 v[4:5], v[8:9], v[214:215]
	v_fma_f64 v[22:23], v[10:11], v[212:213], v[4:5]
	v_add_co_u32 v4, vcc_lo, 0x5000, v84
	v_add_co_ci_u32_e32 v5, vcc_lo, 0, v85, vcc_lo
	global_load_dwordx4 v[208:211], v[4:5], off offset:960
	s_waitcnt vmcnt(0)
	v_mul_f64 v[4:5], v[14:15], v[210:211]
	v_fma_f64 v[10:11], v[12:13], v[208:209], -v[4:5]
	v_mul_f64 v[4:5], v[12:13], v[210:211]
	v_fma_f64 v[90:91], v[14:15], v[208:209], v[4:5]
	v_add_co_u32 v4, vcc_lo, 0x53c0, v84
	v_add_co_ci_u32_e32 v5, vcc_lo, 0, v85, vcc_lo
	global_load_dwordx4 v[200:203], v[4:5], off offset:16
	s_waitcnt vmcnt(0)
	v_mul_f64 v[4:5], v[30:31], v[202:203]
	v_fma_f64 v[26:27], v[28:29], v[200:201], -v[4:5]
	v_mul_f64 v[4:5], v[28:29], v[202:203]
	v_fma_f64 v[14:15], v[30:31], v[200:201], v[4:5]
	v_lshlrev_b32_e32 v4, 5, v76
	ds_read_b128 v[30:33], v52 offset:28080
	v_add_co_u32 v6, s28, s10, v4
	v_add_co_ci_u32_e64 v7, null, s11, 0, s28
	v_add_co_u32 v4, vcc_lo, 0x5000, v6
	v_add_co_ci_u32_e32 v5, vcc_lo, 0, v7, vcc_lo
	global_load_dwordx4 v[204:207], v[4:5], off offset:960
	s_waitcnt vmcnt(0) lgkmcnt(0)
	v_mul_f64 v[4:5], v[32:33], v[206:207]
	v_fma_f64 v[98:99], v[30:31], v[204:205], -v[4:5]
	v_mul_f64 v[4:5], v[30:31], v[206:207]
	v_fma_f64 v[28:29], v[32:33], v[204:205], v[4:5]
	v_add_co_u32 v4, vcc_lo, 0x53c0, v6
	v_add_co_ci_u32_e32 v5, vcc_lo, 0, v7, vcc_lo
	ds_read_b128 v[30:33], v52 offset:49680
	global_load_dwordx4 v[196:199], v[4:5], off offset:16
	s_waitcnt vmcnt(0) lgkmcnt(0)
	v_mul_f64 v[4:5], v[32:33], v[198:199]
	v_fma_f64 v[40:41], v[30:31], v[196:197], -v[4:5]
	v_mul_f64 v[4:5], v[30:31], v[198:199]
	v_fma_f64 v[38:39], v[32:33], v[196:197], v[4:5]
	v_lshlrev_b32_e32 v4, 5, v75
	ds_read_b128 v[32:35], v52 offset:30240
	v_add_co_u32 v6, s28, s10, v4
	v_add_co_ci_u32_e64 v7, null, s11, 0, s28
	v_add_co_u32 v4, vcc_lo, 0x5000, v6
	v_add_co_ci_u32_e32 v5, vcc_lo, 0, v7, vcc_lo
	v_add_co_u32 v6, vcc_lo, 0x53c0, v6
	v_add_co_ci_u32_e32 v7, vcc_lo, 0, v7, vcc_lo
	s_clause 0x1
	global_load_dwordx4 v[192:195], v[4:5], off offset:960
	global_load_dwordx4 v[172:175], v[6:7], off offset:16
	s_waitcnt vmcnt(1) lgkmcnt(0)
	v_mul_f64 v[4:5], v[34:35], v[194:195]
	s_waitcnt vmcnt(0)
	v_mul_f64 v[6:7], v[46:47], v[174:175]
	v_fma_f64 v[30:31], v[32:33], v[192:193], -v[4:5]
	v_mul_f64 v[4:5], v[32:33], v[194:195]
	v_fma_f64 v[42:43], v[44:45], v[172:173], -v[6:7]
	v_mul_f64 v[6:7], v[44:45], v[174:175]
	v_fma_f64 v[4:5], v[34:35], v[192:193], v[4:5]
	v_fma_f64 v[44:45], v[46:47], v[172:173], v[6:7]
	v_lshlrev_b32_e32 v6, 5, v51
	ds_read_b128 v[46:49], v52 offset:32400
	v_add_co_u32 v8, s28, s10, v6
	v_add_co_ci_u32_e64 v9, null, s11, 0, s28
	v_add_co_u32 v6, vcc_lo, 0x5000, v8
	v_add_co_ci_u32_e32 v7, vcc_lo, 0, v9, vcc_lo
	global_load_dwordx4 v[188:191], v[6:7], off offset:960
	s_waitcnt vmcnt(0) lgkmcnt(0)
	v_mul_f64 v[6:7], v[48:49], v[190:191]
	v_fma_f64 v[102:103], v[46:47], v[188:189], -v[6:7]
	v_mul_f64 v[6:7], v[46:47], v[190:191]
	v_fma_f64 v[32:33], v[48:49], v[188:189], v[6:7]
	v_add_co_u32 v6, vcc_lo, 0x53c0, v8
	v_add_co_ci_u32_e32 v7, vcc_lo, 0, v9, vcc_lo
	ds_read_b128 v[46:49], v52 offset:54000
	global_load_dwordx4 v[168:171], v[6:7], off offset:16
	s_waitcnt vmcnt(0) lgkmcnt(0)
	v_mul_f64 v[6:7], v[48:49], v[170:171]
	v_fma_f64 v[12:13], v[46:47], v[168:169], -v[6:7]
	v_mul_f64 v[6:7], v[46:47], v[170:171]
	v_fma_f64 v[104:105], v[48:49], v[168:169], v[6:7]
	v_lshlrev_b32_e32 v6, 5, v81
	ds_read_b128 v[48:51], v52 offset:34560
	v_add_co_u32 v34, s28, s10, v6
	v_add_co_ci_u32_e64 v35, null, s11, 0, s28
	v_add_co_u32 v6, vcc_lo, 0x5000, v34
	v_add_co_ci_u32_e32 v7, vcc_lo, 0, v35, vcc_lo
	global_load_dwordx4 v[164:167], v[6:7], off offset:960
	s_waitcnt vmcnt(0) lgkmcnt(0)
	v_mul_f64 v[8:9], v[48:49], v[166:167]
	v_mul_f64 v[6:7], v[50:51], v[166:167]
	v_fma_f64 v[50:51], v[50:51], v[164:165], v[8:9]
	v_add_co_u32 v8, vcc_lo, 0x53c0, v34
	v_add_co_ci_u32_e32 v9, vcc_lo, 0, v35, vcc_lo
	global_load_dwordx4 v[152:155], v[8:9], off offset:16
	v_fma_f64 v[6:7], v[48:49], v[164:165], -v[6:7]
	s_waitcnt vmcnt(0)
	v_mul_f64 v[8:9], v[62:63], v[154:155]
	v_fma_f64 v[58:59], v[60:61], v[152:153], -v[8:9]
	v_mul_f64 v[8:9], v[60:61], v[154:155]
	v_fma_f64 v[60:61], v[62:63], v[152:153], v[8:9]
	v_lshlrev_b32_e32 v8, 5, v80
	ds_read_b128 v[62:65], v52 offset:36720
	v_add_co_u32 v34, s28, s10, v8
	v_add_co_ci_u32_e64 v35, null, s11, 0, s28
	v_add_co_u32 v8, vcc_lo, 0x5000, v34
	v_add_co_ci_u32_e32 v9, vcc_lo, 0, v35, vcc_lo
	global_load_dwordx4 v[156:159], v[8:9], off offset:960
	s_waitcnt vmcnt(0) lgkmcnt(0)
	v_mul_f64 v[8:9], v[64:65], v[158:159]
	v_fma_f64 v[254:255], v[62:63], v[156:157], -v[8:9]
	v_mul_f64 v[8:9], v[62:63], v[158:159]
	v_fma_f64 v[252:253], v[64:65], v[156:157], v[8:9]
	v_add_co_u32 v8, vcc_lo, 0x53c0, v34
	v_add_co_ci_u32_e32 v9, vcc_lo, 0, v35, vcc_lo
	ds_read_b128 v[62:65], v52 offset:58320
	global_load_dwordx4 v[160:163], v[8:9], off offset:16
	s_waitcnt vmcnt(0) lgkmcnt(0)
	v_mul_f64 v[8:9], v[64:65], v[162:163]
	v_fma_f64 v[68:69], v[62:63], v[160:161], -v[8:9]
	v_mul_f64 v[8:9], v[62:63], v[162:163]
	v_fma_f64 v[70:71], v[64:65], v[160:161], v[8:9]
	v_lshlrev_b32_e32 v8, 5, v79
	ds_read_b128 v[64:67], v52 offset:38880
	ds_read_b128 v[78:81], v52 offset:60480
	v_add_co_u32 v34, s28, s10, v8
	v_add_co_ci_u32_e64 v35, null, s11, 0, s28
	v_add_co_u32 v8, vcc_lo, 0x5000, v34
	v_add_co_ci_u32_e32 v9, vcc_lo, 0, v35, vcc_lo
	global_load_dwordx4 v[144:147], v[8:9], off offset:960
	s_waitcnt vmcnt(0) lgkmcnt(1)
	v_mul_f64 v[8:9], v[66:67], v[146:147]
	v_fma_f64 v[177:178], v[64:65], v[144:145], -v[8:9]
	v_mul_f64 v[8:9], v[64:65], v[146:147]
	v_fma_f64 v[66:67], v[66:67], v[144:145], v[8:9]
	v_add_co_u32 v8, vcc_lo, 0x53c0, v34
	v_add_co_ci_u32_e32 v9, vcc_lo, 0, v35, vcc_lo
	global_load_dwordx4 v[134:137], v[8:9], off offset:16
	s_waitcnt vmcnt(0) lgkmcnt(0)
	v_mul_f64 v[8:9], v[80:81], v[136:137]
	v_fma_f64 v[118:119], v[78:79], v[134:135], -v[8:9]
	v_mul_f64 v[8:9], v[78:79], v[136:137]
	v_fma_f64 v[120:121], v[80:81], v[134:135], v[8:9]
	v_lshlrev_b32_e32 v8, 5, v77
	ds_read_b128 v[74:77], v52 offset:41040
	v_add_co_u32 v36, s10, s10, v8
	v_add_co_ci_u32_e64 v37, null, s11, 0, s10
	v_add_co_u32 v8, vcc_lo, 0x5000, v36
	v_add_co_ci_u32_e32 v9, vcc_lo, 0, v37, vcc_lo
	global_load_dwordx4 v[138:141], v[8:9], off offset:960
	s_waitcnt vmcnt(0) lgkmcnt(0)
	v_mul_f64 v[34:35], v[74:75], v[140:141]
	v_fma_f64 v[84:85], v[76:77], v[138:139], v[34:35]
	v_add_co_u32 v34, vcc_lo, 0x53c0, v36
	v_add_co_ci_u32_e32 v35, vcc_lo, 0, v37, vcc_lo
	v_add_f64 v[36:37], v[24:25], v[20:21]
	global_load_dwordx4 v[148:151], v[34:35], off offset:16
	v_mul_f64 v[8:9], v[76:77], v[140:141]
	v_fma_f64 v[8:9], v[74:75], v[138:139], -v[8:9]
	ds_read_b128 v[74:77], v52 offset:62640
	s_waitcnt vmcnt(0) lgkmcnt(0)
	v_mul_f64 v[34:35], v[76:77], v[150:151]
	v_fma_f64 v[122:123], v[74:75], v[148:149], -v[34:35]
	v_mul_f64 v[34:35], v[74:75], v[150:151]
	v_fma_f64 v[124:125], v[76:77], v[148:149], v[34:35]
	ds_read_b128 v[74:77], v52
	v_add_f64 v[34:35], v[2:3], v[16:17]
	s_waitcnt lgkmcnt(0)
	v_fma_f64 v[36:37], v[36:37], -0.5, v[76:77]
	v_add_f64 v[48:49], v[74:75], v[2:3]
	v_add_f64 v[2:3], v[2:3], -v[16:17]
	v_fma_f64 v[34:35], v[34:35], -0.5, v[74:75]
	v_add_f64 v[46:47], v[76:77], v[24:25]
	v_add_f64 v[24:25], v[24:25], -v[20:21]
	v_add_f64 v[106:107], v[48:49], v[16:17]
	v_fma_f64 v[112:113], v[2:3], s[6:7], v[36:37]
	v_fma_f64 v[116:117], v[2:3], s[8:9], v[36:37]
	v_add_f64 v[2:3], v[0:1], v[92:93]
	v_add_f64 v[16:17], v[18:19], v[22:23]
	;; [unrolled: 1-line block ×3, first 2 shown]
	v_fma_f64 v[110:111], v[24:25], s[8:9], v[34:35]
	v_fma_f64 v[114:115], v[24:25], s[6:7], v[34:35]
	v_add_f64 v[20:21], v[88:89], v[18:19]
	v_add_f64 v[24:25], v[86:87], v[0:1]
	v_add_f64 v[18:19], v[18:19], -v[22:23]
	v_add_f64 v[0:1], v[0:1], -v[92:93]
	v_fma_f64 v[2:3], v[2:3], -0.5, v[86:87]
	v_fma_f64 v[16:17], v[16:17], -0.5, v[88:89]
	ds_read_b128 v[86:89], v52 offset:4320
	v_add_f64 v[74:75], v[20:21], v[22:23]
	v_add_f64 v[20:21], v[90:91], -v[14:15]
	v_add_f64 v[72:73], v[24:25], v[92:93]
	v_fma_f64 v[76:77], v[18:19], s[8:9], v[2:3]
	v_fma_f64 v[80:81], v[18:19], s[6:7], v[2:3]
	v_fma_f64 v[78:79], v[0:1], s[6:7], v[16:17]
	v_fma_f64 v[82:83], v[0:1], s[8:9], v[16:17]
	v_add_f64 v[0:1], v[10:11], v[26:27]
	v_add_f64 v[2:3], v[90:91], v[14:15]
	s_waitcnt lgkmcnt(0)
	v_add_f64 v[18:19], v[86:87], v[10:11]
	v_add_f64 v[10:11], v[10:11], -v[26:27]
	v_add_f64 v[16:17], v[88:89], v[90:91]
	v_fma_f64 v[0:1], v[0:1], -0.5, v[86:87]
	v_fma_f64 v[2:3], v[2:3], -0.5, v[88:89]
	v_add_f64 v[86:87], v[18:19], v[26:27]
	v_add_f64 v[88:89], v[16:17], v[14:15]
	v_add_f64 v[16:17], v[28:29], -v[38:39]
	v_add_f64 v[14:15], v[94:95], v[98:99]
	v_fma_f64 v[62:63], v[20:21], s[8:9], v[0:1]
	v_fma_f64 v[90:91], v[20:21], s[6:7], v[0:1]
	v_fma_f64 v[64:65], v[10:11], s[6:7], v[2:3]
	v_fma_f64 v[92:93], v[10:11], s[8:9], v[2:3]
	v_add_f64 v[0:1], v[98:99], v[40:41]
	v_add_f64 v[2:3], v[28:29], v[38:39]
	;; [unrolled: 1-line block ×4, first 2 shown]
	v_fma_f64 v[0:1], v[0:1], -0.5, v[94:95]
	v_fma_f64 v[2:3], v[2:3], -0.5, v[96:97]
	v_add_f64 v[38:39], v[10:11], v[38:39]
	v_add_f64 v[10:11], v[98:99], -v[40:41]
	ds_read_b128 v[94:97], v52 offset:8640
	v_add_f64 v[40:41], v[84:85], -v[124:125]
	v_fma_f64 v[46:47], v[16:17], s[8:9], v[0:1]
	v_fma_f64 v[53:54], v[16:17], s[6:7], v[0:1]
	v_add_f64 v[0:1], v[30:31], v[42:43]
	v_fma_f64 v[48:49], v[10:11], s[6:7], v[2:3]
	v_fma_f64 v[55:56], v[10:11], s[8:9], v[2:3]
	v_add_f64 v[2:3], v[4:5], v[44:45]
	s_waitcnt lgkmcnt(0)
	v_add_f64 v[10:11], v[96:97], v[4:5]
	v_add_f64 v[14:15], v[94:95], v[30:31]
	v_add_f64 v[4:5], v[4:5], -v[44:45]
	v_fma_f64 v[0:1], v[0:1], -0.5, v[94:95]
	v_fma_f64 v[2:3], v[2:3], -0.5, v[96:97]
	v_add_f64 v[96:97], v[10:11], v[44:45]
	v_add_f64 v[10:11], v[30:31], -v[42:43]
	v_add_f64 v[94:95], v[14:15], v[42:43]
	v_add_f64 v[14:15], v[32:33], -v[104:105]
	v_fma_f64 v[42:43], v[4:5], s[8:9], v[0:1]
	v_fma_f64 v[98:99], v[4:5], s[6:7], v[0:1]
	v_add_f64 v[4:5], v[185:186], v[32:33]
	v_add_f64 v[0:1], v[102:103], v[12:13]
	v_fma_f64 v[44:45], v[10:11], s[6:7], v[2:3]
	v_fma_f64 v[100:101], v[10:11], s[8:9], v[2:3]
	v_add_f64 v[2:3], v[32:33], v[104:105]
	v_add_f64 v[10:11], v[183:184], v[102:103]
	v_add_f64 v[34:35], v[4:5], v[104:105]
	v_add_f64 v[4:5], v[102:103], -v[12:13]
	v_fma_f64 v[0:1], v[0:1], -0.5, v[183:184]
	v_fma_f64 v[2:3], v[2:3], -0.5, v[185:186]
	v_add_f64 v[32:33], v[10:11], v[12:13]
	v_add_f64 v[10:11], v[50:51], v[60:61]
	v_add_f64 v[12:13], v[50:51], -v[60:61]
	v_fma_f64 v[183:184], v[14:15], s[8:9], v[0:1]
	v_fma_f64 v[102:103], v[14:15], s[6:7], v[0:1]
	;; [unrolled: 1-line block ×4, first 2 shown]
	v_add_f64 v[4:5], v[6:7], v[58:59]
	ds_read_b128 v[0:3], v52 offset:12960
	s_waitcnt lgkmcnt(0)
	v_fma_f64 v[10:11], v[10:11], -0.5, v[2:3]
	v_fma_f64 v[4:5], v[4:5], -0.5, v[0:1]
	v_add_f64 v[0:1], v[0:1], v[6:7]
	v_add_f64 v[2:3], v[2:3], v[50:51]
	v_add_f64 v[50:51], v[8:9], -v[122:123]
	v_fma_f64 v[28:29], v[12:13], s[6:7], v[4:5]
	v_add_f64 v[24:25], v[0:1], v[58:59]
	v_add_f64 v[0:1], v[6:7], -v[58:59]
	v_fma_f64 v[58:59], v[12:13], s[8:9], v[4:5]
	v_add_f64 v[4:5], v[254:255], v[68:69]
	v_add_f64 v[26:27], v[2:3], v[60:61]
	;; [unrolled: 1-line block ×3, first 2 shown]
	v_fma_f64 v[60:61], v[0:1], s[6:7], v[10:11]
	v_fma_f64 v[30:31], v[0:1], s[8:9], v[10:11]
	ds_read_b128 v[0:3], v52 offset:15120
	v_add_f64 v[10:11], v[252:253], -v[70:71]
	s_waitcnt lgkmcnt(0)
	v_fma_f64 v[4:5], v[4:5], -0.5, v[0:1]
	v_add_f64 v[0:1], v[0:1], v[254:255]
	v_fma_f64 v[6:7], v[6:7], -0.5, v[2:3]
	v_add_f64 v[2:3], v[2:3], v[252:253]
	v_fma_f64 v[252:253], v[10:11], s[6:7], v[4:5]
	v_add_f64 v[20:21], v[0:1], v[68:69]
	v_add_f64 v[0:1], v[254:255], -v[68:69]
	v_fma_f64 v[68:69], v[10:11], s[8:9], v[4:5]
	v_add_f64 v[4:5], v[177:178], v[118:119]
	v_add_f64 v[22:23], v[2:3], v[70:71]
	v_add_f64 v[10:11], v[66:67], -v[120:121]
	v_fma_f64 v[70:71], v[0:1], s[6:7], v[6:7]
	v_fma_f64 v[254:255], v[0:1], s[8:9], v[6:7]
	ds_read_b128 v[0:3], v52 offset:17280
	v_add_f64 v[6:7], v[66:67], v[120:121]
	s_waitcnt lgkmcnt(0)
	v_fma_f64 v[4:5], v[4:5], -0.5, v[0:1]
	v_add_f64 v[0:1], v[0:1], v[177:178]
	v_fma_f64 v[6:7], v[6:7], -0.5, v[2:3]
	v_add_f64 v[2:3], v[2:3], v[66:67]
	v_fma_f64 v[16:17], v[10:11], s[8:9], v[4:5]
	v_add_f64 v[12:13], v[0:1], v[118:119]
	v_add_f64 v[0:1], v[177:178], -v[118:119]
	v_fma_f64 v[178:179], v[10:11], s[6:7], v[4:5]
	v_add_f64 v[4:5], v[8:9], v[122:123]
	v_add_f64 v[14:15], v[2:3], v[120:121]
	v_fma_f64 v[18:19], v[0:1], s[6:7], v[6:7]
	v_fma_f64 v[180:181], v[0:1], s[8:9], v[6:7]
	ds_read_b128 v[0:3], v52 offset:19440
	s_waitcnt lgkmcnt(0)
	v_fma_f64 v[6:7], v[4:5], -0.5, v[0:1]
	v_add_f64 v[4:5], v[84:85], v[124:125]
	v_add_f64 v[0:1], v[0:1], v[8:9]
	v_fma_f64 v[8:9], v[40:41], s[6:7], v[6:7]
	v_fma_f64 v[10:11], v[4:5], -0.5, v[2:3]
	v_add_f64 v[2:3], v[2:3], v[84:85]
	v_add_f64 v[0:1], v[0:1], v[122:123]
	v_fma_f64 v[4:5], v[40:41], s[8:9], v[6:7]
	v_fma_f64 v[6:7], v[50:51], s[6:7], v[10:11]
	v_add_f64 v[2:3], v[2:3], v[124:125]
	v_fma_f64 v[10:11], v[50:51], s[8:9], v[10:11]
	ds_write_b128 v52, v[106:109]
	ds_write_b128 v52, v[110:113] offset:21600
	ds_write_b128 v52, v[114:117] offset:43200
	;; [unrolled: 1-line block ×29, first 2 shown]
	v_add_co_u32 v0, vcc_lo, 0xf800, v143
	v_add_co_ci_u32_e32 v1, vcc_lo, 0, v182, vcc_lo
	s_waitcnt lgkmcnt(0)
	s_barrier
	buffer_gl0_inv
	global_load_dwordx4 v[0:3], v[0:1], off offset:1312
	ds_read_b128 v[4:7], v52
	ds_read_b128 v[44:47], v52 offset:2160
	ds_read_b128 v[53:56], v52 offset:8640
	;; [unrolled: 1-line block ×15, first 2 shown]
	s_waitcnt vmcnt(0) lgkmcnt(15)
	v_mul_f64 v[8:9], v[6:7], v[2:3]
	v_mul_f64 v[2:3], v[4:5], v[2:3]
	v_fma_f64 v[126:127], v[4:5], v[0:1], -v[8:9]
	v_fma_f64 v[128:129], v[6:7], v[0:1], v[2:3]
	v_add_co_u32 v0, vcc_lo, 0x11000, v143
	v_add_co_ci_u32_e32 v1, vcc_lo, 0, v182, vcc_lo
	ds_read_b128 v[4:7], v52 offset:6480
	global_load_dwordx4 v[0:3], v[0:1], off offset:1648
	s_waitcnt vmcnt(0) lgkmcnt(0)
	v_mul_f64 v[8:9], v[6:7], v[2:3]
	v_mul_f64 v[2:3], v[4:5], v[2:3]
	v_fma_f64 v[122:123], v[4:5], v[0:1], -v[8:9]
	v_fma_f64 v[124:125], v[6:7], v[0:1], v[2:3]
	v_add_co_u32 v0, vcc_lo, 0x12800, v143
	v_add_co_ci_u32_e32 v1, vcc_lo, 0, v182, vcc_lo
	ds_read_b128 v[4:7], v52 offset:12960
	global_load_dwordx4 v[0:3], v[0:1], off offset:1984
	s_waitcnt vmcnt(0) lgkmcnt(0)
	v_mul_f64 v[8:9], v[6:7], v[2:3]
	v_mul_f64 v[2:3], v[4:5], v[2:3]
	v_fma_f64 v[118:119], v[4:5], v[0:1], -v[8:9]
	v_fma_f64 v[120:121], v[6:7], v[0:1], v[2:3]
	v_add_co_u32 v0, vcc_lo, 0x14800, v143
	v_add_co_ci_u32_e32 v1, vcc_lo, 0, v182, vcc_lo
	ds_read_b128 v[4:7], v52 offset:19440
	global_load_dwordx4 v[0:3], v[0:1], off offset:272
	s_waitcnt vmcnt(0) lgkmcnt(0)
	v_mul_f64 v[8:9], v[6:7], v[2:3]
	v_mul_f64 v[2:3], v[4:5], v[2:3]
	v_fma_f64 v[36:37], v[4:5], v[0:1], -v[8:9]
	v_fma_f64 v[38:39], v[6:7], v[0:1], v[2:3]
	v_add_co_u32 v0, vcc_lo, 0x16000, v143
	v_add_co_ci_u32_e32 v1, vcc_lo, 0, v182, vcc_lo
	ds_read_b128 v[4:7], v52 offset:25920
	global_load_dwordx4 v[0:3], v[0:1], off offset:608
	s_waitcnt vmcnt(0) lgkmcnt(0)
	v_mul_f64 v[8:9], v[6:7], v[2:3]
	v_mul_f64 v[2:3], v[4:5], v[2:3]
	v_fma_f64 v[32:33], v[4:5], v[0:1], -v[8:9]
	v_fma_f64 v[34:35], v[6:7], v[0:1], v[2:3]
	v_add_co_u32 v0, vcc_lo, 0x17800, v143
	v_add_co_ci_u32_e32 v1, vcc_lo, 0, v182, vcc_lo
	ds_read_b128 v[4:7], v52 offset:32400
	global_load_dwordx4 v[0:3], v[0:1], off offset:944
	s_waitcnt vmcnt(0) lgkmcnt(0)
	v_mul_f64 v[8:9], v[6:7], v[2:3]
	v_mul_f64 v[2:3], v[4:5], v[2:3]
	v_fma_f64 v[28:29], v[4:5], v[0:1], -v[8:9]
	v_fma_f64 v[30:31], v[6:7], v[0:1], v[2:3]
	v_add_co_u32 v0, vcc_lo, 0x19000, v143
	v_add_co_ci_u32_e32 v1, vcc_lo, 0, v182, vcc_lo
	ds_read_b128 v[4:7], v52 offset:38880
	global_load_dwordx4 v[0:3], v[0:1], off offset:1280
	s_waitcnt vmcnt(0) lgkmcnt(0)
	v_mul_f64 v[8:9], v[6:7], v[2:3]
	v_mul_f64 v[2:3], v[4:5], v[2:3]
	v_fma_f64 v[24:25], v[4:5], v[0:1], -v[8:9]
	v_fma_f64 v[26:27], v[6:7], v[0:1], v[2:3]
	v_add_co_u32 v0, vcc_lo, 0x1a800, v143
	v_add_co_ci_u32_e32 v1, vcc_lo, 0, v182, vcc_lo
	ds_read_b128 v[4:7], v52 offset:45360
	global_load_dwordx4 v[0:3], v[0:1], off offset:1616
	s_waitcnt vmcnt(0) lgkmcnt(0)
	v_mul_f64 v[8:9], v[6:7], v[2:3]
	v_mul_f64 v[2:3], v[4:5], v[2:3]
	v_fma_f64 v[20:21], v[4:5], v[0:1], -v[8:9]
	v_fma_f64 v[22:23], v[6:7], v[0:1], v[2:3]
	v_add_co_u32 v0, vcc_lo, 0x1c000, v143
	v_add_co_ci_u32_e32 v1, vcc_lo, 0, v182, vcc_lo
	ds_read_b128 v[4:7], v52 offset:51840
	global_load_dwordx4 v[0:3], v[0:1], off offset:1952
	s_waitcnt vmcnt(0) lgkmcnt(0)
	v_mul_f64 v[8:9], v[6:7], v[2:3]
	v_mul_f64 v[2:3], v[4:5], v[2:3]
	v_fma_f64 v[16:17], v[4:5], v[0:1], -v[8:9]
	v_fma_f64 v[18:19], v[6:7], v[0:1], v[2:3]
	v_add_co_u32 v0, vcc_lo, 0x1e000, v143
	v_add_co_ci_u32_e32 v1, vcc_lo, 0, v182, vcc_lo
	global_load_dwordx4 v[40:43], v[0:1], off offset:240
	ds_read_b128 v[0:3], v52 offset:58320
	s_waitcnt vmcnt(0) lgkmcnt(0)
	v_mul_f64 v[4:5], v[2:3], v[42:43]
	v_mul_f64 v[6:7], v[0:1], v[42:43]
	v_fma_f64 v[12:13], v[0:1], v[40:41], -v[4:5]
	v_add_co_u32 v0, vcc_lo, 0x10000, v143
	v_add_co_ci_u32_e32 v1, vcc_lo, 0, v182, vcc_lo
	v_fma_f64 v[14:15], v[2:3], v[40:41], v[6:7]
	global_load_dwordx4 v[40:43], v[0:1], off offset:1424
	s_waitcnt vmcnt(0)
	v_mul_f64 v[0:1], v[46:47], v[42:43]
	v_mul_f64 v[2:3], v[44:45], v[42:43]
	v_fma_f64 v[42:43], v[44:45], v[40:41], -v[0:1]
	v_add_co_u32 v0, vcc_lo, 0x11800, v143
	v_add_co_ci_u32_e32 v1, vcc_lo, 0, v182, vcc_lo
	v_fma_f64 v[44:45], v[46:47], v[40:41], v[2:3]
	global_load_dwordx4 v[48:51], v[0:1], off offset:1760
	s_waitcnt vmcnt(0)
	;; [unrolled: 8-line block ×3, first 2 shown]
	v_mul_f64 v[0:1], v[59:60], v[55:56]
	v_mul_f64 v[2:3], v[57:58], v[55:56]
	v_fma_f64 v[82:83], v[57:58], v[53:54], -v[0:1]
	v_add_co_u32 v0, vcc_lo, 0x15000, v143
	v_add_co_ci_u32_e32 v1, vcc_lo, 0, v182, vcc_lo
	v_fma_f64 v[84:85], v[59:60], v[53:54], v[2:3]
	ds_read_b128 v[60:63], v52 offset:21600
	global_load_dwordx4 v[56:59], v[0:1], off offset:384
	s_waitcnt vmcnt(0) lgkmcnt(0)
	v_mul_f64 v[0:1], v[62:63], v[58:59]
	v_mul_f64 v[2:3], v[60:61], v[58:59]
	v_fma_f64 v[54:55], v[60:61], v[56:57], -v[0:1]
	v_add_co_u32 v0, vcc_lo, 0x16800, v143
	v_add_co_ci_u32_e32 v1, vcc_lo, 0, v182, vcc_lo
	v_fma_f64 v[56:57], v[62:63], v[56:57], v[2:3]
	global_load_dwordx4 v[60:63], v[0:1], off offset:720
	s_waitcnt vmcnt(0)
	v_mul_f64 v[0:1], v[66:67], v[62:63]
	v_mul_f64 v[2:3], v[64:65], v[62:63]
	v_fma_f64 v[58:59], v[64:65], v[60:61], -v[0:1]
	v_add_co_u32 v0, vcc_lo, 0x18000, v143
	v_add_co_ci_u32_e32 v1, vcc_lo, 0, v182, vcc_lo
	v_fma_f64 v[60:61], v[66:67], v[60:61], v[2:3]
	global_load_dwordx4 v[64:67], v[0:1], off offset:1056
	s_waitcnt vmcnt(0)
	;; [unrolled: 8-line block ×5, first 2 shown]
	v_mul_f64 v[0:1], v[88:89], v[78:79]
	v_mul_f64 v[2:3], v[86:87], v[78:79]
	ds_read_b128 v[78:81], v52 offset:60480
	v_fma_f64 v[74:75], v[86:87], v[76:77], -v[0:1]
	v_add_co_u32 v0, vcc_lo, 0x1e800, v143
	v_add_co_ci_u32_e32 v1, vcc_lo, 0, v182, vcc_lo
	v_fma_f64 v[76:77], v[88:89], v[76:77], v[2:3]
	global_load_dwordx4 v[86:89], v[0:1], off offset:352
	s_waitcnt vmcnt(0) lgkmcnt(0)
	v_mul_f64 v[0:1], v[80:81], v[88:89]
	v_mul_f64 v[2:3], v[78:79], v[88:89]
	v_fma_f64 v[78:79], v[78:79], v[86:87], -v[0:1]
	v_add_co_u32 v0, vcc_lo, 0x10800, v143
	v_add_co_ci_u32_e32 v1, vcc_lo, 0, v182, vcc_lo
	v_fma_f64 v[80:81], v[80:81], v[86:87], v[2:3]
	global_load_dwordx4 v[86:89], v[0:1], off offset:1536
	s_waitcnt vmcnt(0)
	v_mul_f64 v[0:1], v[92:93], v[88:89]
	v_mul_f64 v[2:3], v[90:91], v[88:89]
	v_fma_f64 v[88:89], v[90:91], v[86:87], -v[0:1]
	v_add_co_u32 v0, vcc_lo, 0x12000, v143
	v_add_co_ci_u32_e32 v1, vcc_lo, 0, v182, vcc_lo
	v_fma_f64 v[90:91], v[92:93], v[86:87], v[2:3]
	global_load_dwordx4 v[92:95], v[0:1], off offset:1872
	s_waitcnt vmcnt(0)
	;; [unrolled: 8-line block ×7, first 2 shown]
	v_mul_f64 v[0:1], v[254:255], v[179:180]
	v_mul_f64 v[2:3], v[252:253], v[179:180]
	v_fma_f64 v[252:253], v[252:253], v[177:178], -v[0:1]
	v_add_co_u32 v0, vcc_lo, 0x1b800, v143
	v_add_co_ci_u32_e32 v1, vcc_lo, 0, v182, vcc_lo
	v_fma_f64 v[254:255], v[254:255], v[177:178], v[2:3]
	global_load_dwordx4 v[177:180], v[0:1], off offset:1840
	ds_read_b128 v[0:3], v52 offset:49680
	s_waitcnt vmcnt(0) lgkmcnt(0)
	v_mul_f64 v[4:5], v[2:3], v[179:180]
	v_mul_f64 v[6:7], v[0:1], v[179:180]
	v_fma_f64 v[8:9], v[0:1], v[177:178], -v[4:5]
	v_add_co_u32 v0, vcc_lo, 0x1d800, v143
	v_add_co_ci_u32_e32 v1, vcc_lo, 0, v182, vcc_lo
	v_fma_f64 v[10:11], v[2:3], v[177:178], v[6:7]
	global_load_dwordx4 v[177:180], v[0:1], off offset:128
	ds_read_b128 v[0:3], v52 offset:56160
	s_waitcnt vmcnt(0) lgkmcnt(0)
	;; [unrolled: 9-line block ×3, first 2 shown]
	v_mul_f64 v[40:41], v[2:3], v[179:180]
	v_mul_f64 v[50:51], v[0:1], v[179:180]
	v_fma_f64 v[0:1], v[0:1], v[177:178], -v[40:41]
	v_fma_f64 v[2:3], v[2:3], v[177:178], v[50:51]
	ds_write_b128 v52, v[126:129]
	ds_write_b128 v52, v[122:125] offset:6480
	ds_write_b128 v52, v[118:121] offset:12960
	;; [unrolled: 1-line block ×29, first 2 shown]
	s_waitcnt lgkmcnt(0)
	s_barrier
	buffer_gl0_inv
	ds_read_b128 v[0:3], v52 offset:12960
	ds_read_b128 v[4:7], v52
	ds_read_b128 v[8:11], v52 offset:25920
	s_waitcnt lgkmcnt(1)
	v_add_f64 v[12:13], v[4:5], v[0:1]
	s_waitcnt lgkmcnt(0)
	v_add_f64 v[24:25], v[0:1], -v[8:9]
	v_add_f64 v[26:27], v[8:9], -v[0:1]
	;; [unrolled: 1-line block ×4, first 2 shown]
	v_add_f64 v[16:17], v[12:13], v[8:9]
	v_add_f64 v[12:13], v[6:7], v[2:3]
	;; [unrolled: 1-line block ×3, first 2 shown]
	ds_read_b128 v[12:15], v52 offset:38880
	s_waitcnt lgkmcnt(0)
	v_add_f64 v[20:21], v[8:9], v[12:13]
	v_add_f64 v[22:23], v[10:11], -v[14:15]
	v_add_f64 v[28:29], v[10:11], v[14:15]
	v_add_f64 v[30:31], v[8:9], -v[12:13]
	ds_read_b128 v[8:11], v52 offset:51840
	v_fma_f64 v[20:21], v[20:21], -0.5, v[4:5]
	s_waitcnt lgkmcnt(0)
	v_add_f64 v[36:37], v[2:3], -v[10:11]
	v_add_f64 v[38:39], v[0:1], v[8:9]
	v_add_f64 v[40:41], v[0:1], -v[8:9]
	v_add_f64 v[42:43], v[2:3], v[10:11]
	v_add_f64 v[0:1], v[16:17], v[12:13]
	;; [unrolled: 1-line block ×3, first 2 shown]
	v_add_f64 v[44:45], v[8:9], -v[12:13]
	v_add_f64 v[46:47], v[12:13], -v[8:9]
	;; [unrolled: 1-line block ×4, first 2 shown]
	v_fma_f64 v[28:29], v[28:29], -0.5, v[6:7]
	v_fma_f64 v[4:5], v[38:39], -0.5, v[4:5]
	;; [unrolled: 1-line block ×3, first 2 shown]
	v_add_f64 v[53:54], v[0:1], v[8:9]
	v_add_f64 v[55:56], v[2:3], v[10:11]
	ds_read_b128 v[0:3], v52 offset:19440
	ds_read_b128 v[8:11], v52 offset:6480
	;; [unrolled: 1-line block ×3, first 2 shown]
	v_add_f64 v[26:27], v[26:27], v[46:47]
	s_waitcnt lgkmcnt(1)
	v_add_f64 v[16:17], v[8:9], v[0:1]
	s_waitcnt lgkmcnt(0)
	v_add_f64 v[63:64], v[0:1], -v[12:13]
	v_add_f64 v[65:66], v[12:13], -v[0:1]
	v_add_f64 v[72:73], v[2:3], -v[14:15]
	v_add_f64 v[74:75], v[14:15], -v[2:3]
	v_add_f64 v[57:58], v[16:17], v[12:13]
	v_add_f64 v[16:17], v[10:11], v[2:3]
	v_add_f64 v[59:60], v[16:17], v[14:15]
	ds_read_b128 v[16:19], v52 offset:45360
	s_waitcnt lgkmcnt(0)
	v_add_f64 v[70:71], v[14:15], v[18:19]
	v_add_f64 v[57:58], v[57:58], v[16:17]
	;; [unrolled: 1-line block ×3, first 2 shown]
	v_add_f64 v[68:69], v[14:15], -v[18:19]
	v_add_f64 v[100:101], v[12:13], -v[16:17]
	ds_read_b128 v[12:15], v52 offset:58320
	v_add_f64 v[59:60], v[59:60], v[18:19]
	v_fma_f64 v[38:39], v[70:71], -0.5, v[10:11]
	v_fma_f64 v[42:43], v[61:62], -0.5, v[8:9]
	s_waitcnt lgkmcnt(0)
	v_add_f64 v[76:77], v[0:1], v[12:13]
	v_add_f64 v[0:1], v[0:1], -v[12:13]
	v_add_f64 v[78:79], v[12:13], -v[16:17]
	;; [unrolled: 1-line block ×3, first 2 shown]
	v_add_f64 v[12:13], v[57:58], v[12:13]
	v_add_f64 v[102:103], v[2:3], -v[14:15]
	v_add_f64 v[2:3], v[2:3], v[14:15]
	v_add_f64 v[80:81], v[14:15], -v[18:19]
	v_add_f64 v[18:19], v[18:19], -v[14:15]
	v_add_f64 v[14:15], v[59:60], v[14:15]
	v_fma_f64 v[8:9], v[76:77], -0.5, v[8:9]
	v_add_f64 v[16:17], v[65:66], v[16:17]
	v_add_f64 v[88:89], v[53:54], v[12:13]
	v_add_f64 v[96:97], v[53:54], -v[12:13]
	v_add_f64 v[12:13], v[32:33], v[48:49]
	v_fma_f64 v[32:33], v[0:1], s[18:19], v[38:39]
	v_fma_f64 v[2:3], v[2:3], -0.5, v[10:11]
	v_add_f64 v[10:11], v[24:25], v[44:45]
	v_add_f64 v[24:25], v[72:73], v[80:81]
	v_fma_f64 v[44:45], v[102:103], s[20:21], v[42:43]
	v_add_f64 v[90:91], v[55:56], v[14:15]
	v_add_f64 v[98:99], v[55:56], -v[14:15]
	v_add_f64 v[14:15], v[63:64], v[78:79]
	v_fma_f64 v[53:54], v[40:41], s[18:19], v[28:29]
	v_add_f64 v[18:19], v[74:75], v[18:19]
	v_fma_f64 v[32:33], v[100:101], s[14:15], v[32:33]
	v_fma_f64 v[44:45], v[68:69], s[16:17], v[44:45]
	;; [unrolled: 1-line block ×6, first 2 shown]
	v_mul_f64 v[48:49], v[32:33], s[16:17]
	v_fma_f64 v[48:49], v[44:45], s[22:23], v[48:49]
	v_mul_f64 v[44:45], v[44:45], s[14:15]
	v_fma_f64 v[32:33], v[32:33], s[22:23], v[44:45]
	v_fma_f64 v[44:45], v[36:37], s[20:21], v[20:21]
	v_add_f64 v[82:83], v[53:54], v[32:33]
	v_fma_f64 v[44:45], v[22:23], s[16:17], v[44:45]
	v_add_f64 v[94:95], v[53:54], -v[32:33]
	v_add_f64 v[32:33], v[34:35], v[50:51]
	v_fma_f64 v[34:35], v[100:101], s[20:21], v[2:3]
	v_fma_f64 v[2:3], v[100:101], s[18:19], v[2:3]
	;; [unrolled: 1-line block ×6, first 2 shown]
	v_add_f64 v[80:81], v[44:45], v[48:49]
	v_add_f64 v[92:93], v[44:45], -v[48:49]
	v_fma_f64 v[44:45], v[68:69], s[18:19], v[8:9]
	v_fma_f64 v[34:35], v[18:19], s[12:13], v[34:35]
	;; [unrolled: 1-line block ×8, first 2 shown]
	v_mul_f64 v[46:47], v[34:35], s[20:21]
	v_mul_f64 v[34:35], v[34:35], s[12:13]
	v_fma_f64 v[8:9], v[102:103], s[14:15], v[8:9]
	v_fma_f64 v[6:7], v[40:41], s[16:17], v[6:7]
	v_fma_f64 v[48:49], v[40:41], s[14:15], v[48:49]
	v_fma_f64 v[0:1], v[24:25], s[12:13], v[0:1]
	v_fma_f64 v[44:45], v[16:17], s[12:13], v[44:45]
	v_fma_f64 v[8:9], v[16:17], s[12:13], v[8:9]
	v_mul_f64 v[16:17], v[2:3], s[20:21]
	v_mul_f64 v[2:3], v[2:3], s[24:25]
	v_fma_f64 v[6:7], v[32:33], s[12:13], v[6:7]
	v_fma_f64 v[48:49], v[32:33], s[12:13], v[48:49]
	;; [unrolled: 1-line block ×8, first 2 shown]
	v_mul_f64 v[8:9], v[0:1], s[16:17]
	v_mul_f64 v[0:1], v[0:1], s[26:27]
	v_add_f64 v[74:75], v[48:49], v[34:35]
	v_fma_f64 v[44:45], v[36:37], s[16:17], v[44:45]
	v_fma_f64 v[4:5], v[36:37], s[14:15], v[4:5]
	v_add_f64 v[86:87], v[48:49], -v[34:35]
	v_add_f64 v[66:67], v[6:7], v[2:3]
	v_add_f64 v[78:79], v[6:7], -v[2:3]
	v_fma_f64 v[6:7], v[102:103], s[18:19], v[42:43]
	v_fma_f64 v[2:3], v[36:37], s[18:19], v[20:21]
	;; [unrolled: 1-line block ×6, first 2 shown]
	v_add_f64 v[72:73], v[44:45], v[46:47]
	v_add_f64 v[64:65], v[4:5], v[16:17]
	v_add_f64 v[76:77], v[4:5], -v[16:17]
	v_fma_f64 v[4:5], v[40:41], s[20:21], v[28:29]
	v_add_f64 v[84:85], v[44:45], -v[46:47]
	v_fma_f64 v[6:7], v[14:15], s[12:13], v[6:7]
	v_fma_f64 v[2:3], v[10:11], s[12:13], v[2:3]
	;; [unrolled: 1-line block ×6, first 2 shown]
	v_add_f64 v[60:61], v[2:3], v[8:9]
	v_add_f64 v[68:69], v[2:3], -v[8:9]
	v_add_f64 v[62:63], v[4:5], v[0:1]
	v_add_f64 v[70:71], v[4:5], -v[0:1]
	ds_read_b128 v[48:51], v52 offset:2160
	ds_read_b128 v[12:15], v52 offset:15120
	;; [unrolled: 1-line block ×20, first 2 shown]
	s_waitcnt lgkmcnt(0)
	v_add_f64 v[53:54], v[48:49], v[12:13]
	s_barrier
	buffer_gl0_inv
	ds_write_b128 v176, v[88:91]
	ds_write_b128 v176, v[80:83] offset:16
	ds_write_b128 v176, v[72:75] offset:32
	;; [unrolled: 1-line block ×9, first 2 shown]
	v_add_f64 v[60:61], v[50:51], v[14:15]
	v_add_f64 v[62:63], v[4:5], v[8:9]
	v_add_f64 v[64:65], v[12:13], -v[4:5]
	v_add_f64 v[66:67], v[4:5], -v[12:13]
	;; [unrolled: 1-line block ×5, first 2 shown]
	v_add_f64 v[53:54], v[53:54], v[4:5]
	v_add_f64 v[4:5], v[12:13], v[0:1]
	;; [unrolled: 1-line block ×3, first 2 shown]
	v_add_f64 v[70:71], v[14:15], -v[6:7]
	v_add_f64 v[76:77], v[6:7], -v[14:15]
	;; [unrolled: 1-line block ×4, first 2 shown]
	v_add_f64 v[90:91], v[114:115], v[118:119]
	v_add_f64 v[86:87], v[108:109], -v[112:113]
	v_add_f64 v[88:89], v[112:113], -v[108:109]
	;; [unrolled: 1-line block ×7, first 2 shown]
	v_add_f64 v[60:61], v[60:61], v[6:7]
	v_add_f64 v[6:7], v[14:15], v[2:3]
	v_add_f64 v[124:125], v[122:123], -v[118:119]
	v_fma_f64 v[126:127], v[62:63], -0.5, v[48:49]
	v_add_f64 v[12:13], v[53:54], v[8:9]
	v_add_f64 v[53:54], v[0:1], -v[8:9]
	v_fma_f64 v[128:129], v[4:5], -0.5, v[48:49]
	v_fma_f64 v[142:143], v[68:69], -0.5, v[50:51]
	;; [unrolled: 1-line block ×3, first 2 shown]
	v_add_f64 v[14:15], v[60:61], v[10:11]
	v_add_f64 v[60:61], v[8:9], -v[0:1]
	v_add_f64 v[8:9], v[2:3], -v[10:11]
	v_add_f64 v[94:95], v[94:95], v[124:125]
	v_fma_f64 v[68:69], v[6:7], -0.5, v[50:51]
	v_add_f64 v[10:11], v[12:13], v[0:1]
	v_add_f64 v[0:1], v[104:105], v[108:109]
	;; [unrolled: 1-line block ×11, first 2 shown]
	v_add_f64 v[108:109], v[108:109], -v[120:121]
	v_add_f64 v[2:3], v[2:3], v[114:115]
	v_add_f64 v[114:115], v[120:121], -v[116:117]
	v_fma_f64 v[176:177], v[14:15], -0.5, v[104:105]
	v_fma_f64 v[106:107], v[110:111], -0.5, v[106:107]
	v_add_f64 v[110:111], v[70:71], v[8:9]
	v_add_f64 v[0:1], v[0:1], v[116:117]
	v_add_f64 v[116:117], v[116:117], -v[120:121]
	v_fma_f64 v[8:9], v[108:109], s[18:19], v[90:91]
	v_fma_f64 v[104:105], v[112:113], -0.5, v[104:105]
	v_add_f64 v[2:3], v[2:3], v[118:119]
	v_add_f64 v[118:119], v[118:119], -v[122:123]
	v_add_f64 v[86:87], v[86:87], v[114:115]
	v_add_f64 v[120:121], v[0:1], v[120:121]
	;; [unrolled: 1-line block ×3, first 2 shown]
	v_fma_f64 v[8:9], v[92:93], s[14:15], v[8:9]
	v_add_f64 v[122:123], v[2:3], v[122:123]
	v_add_f64 v[76:77], v[96:97], v[118:119]
	;; [unrolled: 1-line block ×3, first 2 shown]
	v_add_f64 v[4:5], v[10:11], -v[120:121]
	v_fma_f64 v[10:11], v[98:99], s[20:21], v[176:177]
	v_fma_f64 v[8:9], v[94:95], s[12:13], v[8:9]
	v_add_f64 v[2:3], v[12:13], v[122:123]
	v_add_f64 v[6:7], v[12:13], -v[122:123]
	v_fma_f64 v[10:11], v[84:85], s[16:17], v[10:11]
	v_mul_f64 v[12:13], v[8:9], s[16:17]
	v_fma_f64 v[10:11], v[86:87], s[12:13], v[10:11]
	v_fma_f64 v[12:13], v[10:11], s[22:23], v[12:13]
	v_mul_f64 v[10:11], v[10:11], s[14:15]
	v_fma_f64 v[14:15], v[8:9], s[22:23], v[10:11]
	v_fma_f64 v[8:9], v[78:79], s[20:21], v[126:127]
	v_fma_f64 v[10:11], v[80:81], s[18:19], v[142:143]
	v_fma_f64 v[8:9], v[72:73], s[16:17], v[8:9]
	v_fma_f64 v[10:11], v[74:75], s[14:15], v[10:11]
	v_fma_f64 v[48:49], v[53:54], s[12:13], v[8:9]
	v_fma_f64 v[50:51], v[110:111], s[12:13], v[10:11]
	v_add_f64 v[8:9], v[48:49], v[12:13]
	v_add_f64 v[12:13], v[48:49], -v[12:13]
	v_fma_f64 v[48:49], v[92:93], s[20:21], v[106:107]
	v_add_f64 v[10:11], v[50:51], v[14:15]
	v_add_f64 v[14:15], v[50:51], -v[14:15]
	v_fma_f64 v[50:51], v[84:85], s[18:19], v[104:105]
	v_fma_f64 v[48:49], v[108:109], s[14:15], v[48:49]
	;; [unrolled: 1-line block ×5, first 2 shown]
	v_mul_f64 v[60:61], v[48:49], s[20:21]
	v_mul_f64 v[48:49], v[48:49], s[12:13]
	v_fma_f64 v[60:61], v[50:51], s[12:13], v[60:61]
	v_fma_f64 v[62:63], v[50:51], s[18:19], v[48:49]
	;; [unrolled: 1-line block ×8, first 2 shown]
	v_add_f64 v[48:49], v[82:83], v[60:61]
	v_add_f64 v[60:61], v[82:83], -v[60:61]
	v_fma_f64 v[82:83], v[72:73], s[20:21], v[128:129]
	v_add_f64 v[50:51], v[88:89], v[62:63]
	v_add_f64 v[62:63], v[88:89], -v[62:63]
	v_fma_f64 v[82:83], v[78:79], s[14:15], v[82:83]
	v_fma_f64 v[78:79], v[78:79], s[18:19], v[126:127]
	;; [unrolled: 1-line block ×18, first 2 shown]
	v_mul_f64 v[68:69], v[64:65], s[20:21]
	v_mul_f64 v[64:65], v[64:65], s[24:25]
	v_fma_f64 v[76:77], v[92:93], s[16:17], v[76:77]
	v_fma_f64 v[68:69], v[66:67], s[24:25], v[68:69]
	v_fma_f64 v[70:71], v[66:67], s[18:19], v[64:65]
	v_fma_f64 v[76:77], v[94:95], s[12:13], v[76:77]
	v_add_f64 v[64:65], v[82:83], v[68:69]
	v_add_f64 v[68:69], v[82:83], -v[68:69]
	v_fma_f64 v[82:83], v[98:99], s[18:19], v[176:177]
	v_mul_f64 v[74:75], v[76:77], s[16:17]
	v_mul_f64 v[76:77], v[76:77], s[26:27]
	v_add_f64 v[66:67], v[88:89], v[70:71]
	v_add_f64 v[70:71], v[88:89], -v[70:71]
	v_fma_f64 v[78:79], v[84:85], s[14:15], v[82:83]
	v_fma_f64 v[72:73], v[86:87], s[12:13], v[78:79]
	;; [unrolled: 1-line block ×4, first 2 shown]
	v_add_f64 v[72:73], v[53:54], v[78:79]
	v_add_f64 v[74:75], v[80:81], v[82:83]
	v_add_f64 v[76:77], v[53:54], -v[78:79]
	v_add_f64 v[78:79], v[80:81], -v[82:83]
	ds_write_b128 v187, v[0:3]
	ds_write_b128 v187, v[8:11] offset:16
	ds_write_b128 v187, v[48:51] offset:32
	;; [unrolled: 1-line block ×9, first 2 shown]
	v_add_f64 v[0:1], v[56:57], v[44:45]
	v_add_f64 v[2:3], v[58:59], v[46:47]
	;; [unrolled: 1-line block ×3, first 2 shown]
	v_add_f64 v[48:49], v[38:39], -v[42:43]
	v_add_f64 v[8:9], v[44:45], -v[36:37]
	;; [unrolled: 1-line block ×3, first 2 shown]
	v_add_f64 v[6:7], v[38:39], v[42:43]
	v_add_f64 v[10:11], v[46:47], -v[38:39]
	v_add_f64 v[53:54], v[46:47], -v[34:35]
	v_add_f64 v[12:13], v[44:45], v[32:33]
	v_add_f64 v[44:45], v[44:45], -v[32:33]
	v_add_f64 v[14:15], v[46:47], v[34:35]
	;; [unrolled: 2-line block ×3, first 2 shown]
	v_add_f64 v[62:63], v[16:17], v[24:25]
	v_add_f64 v[64:65], v[18:19], -v[26:27]
	v_add_f64 v[66:67], v[20:21], -v[16:17]
	;; [unrolled: 1-line block ×5, first 2 shown]
	v_add_f64 v[76:77], v[20:21], v[28:29]
	v_add_f64 v[78:79], v[20:21], -v[28:29]
	v_add_f64 v[0:1], v[0:1], v[36:37]
	v_add_f64 v[2:3], v[2:3], v[38:39]
	v_add_f64 v[36:37], v[36:37], -v[40:41]
	v_add_f64 v[38:39], v[38:39], -v[46:47]
	;; [unrolled: 1-line block ×4, first 2 shown]
	v_fma_f64 v[82:83], v[4:5], -0.5, v[56:57]
	v_fma_f64 v[84:85], v[6:7], -0.5, v[58:59]
	;; [unrolled: 1-line block ×7, first 2 shown]
	v_add_f64 v[0:1], v[0:1], v[40:41]
	v_add_f64 v[2:3], v[2:3], v[42:43]
	v_add_f64 v[40:41], v[40:41], -v[32:33]
	v_add_f64 v[42:43], v[42:43], -v[34:35]
	v_add_f64 v[32:33], v[0:1], v[32:33]
	v_add_f64 v[0:1], v[100:101], v[20:21]
	;; [unrolled: 1-line block ×6, first 2 shown]
	v_add_f64 v[16:17], v[22:23], -v[18:19]
	v_add_f64 v[2:3], v[2:3], v[18:19]
	v_add_f64 v[18:19], v[18:19], -v[22:23]
	v_add_f64 v[22:23], v[28:29], -v[24:25]
	v_fma_f64 v[86:87], v[20:21], -0.5, v[102:103]
	v_add_f64 v[0:1], v[0:1], v[24:25]
	v_add_f64 v[24:25], v[24:25], -v[28:29]
	v_add_f64 v[2:3], v[2:3], v[26:27]
	v_add_f64 v[26:27], v[26:27], -v[30:31]
	v_add_f64 v[28:29], v[0:1], v[28:29]
	v_add_f64 v[24:25], v[68:69], v[24:25]
	;; [unrolled: 1-line block ×4, first 2 shown]
	v_fma_f64 v[18:19], v[64:65], s[18:19], v[76:77]
	v_add_f64 v[0:1], v[32:33], v[28:29]
	v_add_f64 v[4:5], v[32:33], -v[28:29]
	v_add_f64 v[32:33], v[8:9], v[46:47]
	v_fma_f64 v[8:9], v[78:79], s[18:19], v[70:71]
	v_add_f64 v[2:3], v[34:35], v[30:31]
	v_add_f64 v[6:7], v[34:35], -v[30:31]
	v_add_f64 v[34:35], v[10:11], v[60:61]
	v_add_f64 v[59:60], v[16:17], v[80:81]
	v_fma_f64 v[10:11], v[74:75], s[20:21], v[62:63]
	v_add_f64 v[46:47], v[66:67], v[22:23]
	v_fma_f64 v[18:19], v[74:75], s[16:17], v[18:19]
	v_add_f64 v[28:29], v[50:51], v[40:41]
	v_add_f64 v[30:31], v[38:39], v[42:43]
	v_fma_f64 v[42:43], v[44:45], s[20:21], v[84:85]
	v_fma_f64 v[8:9], v[72:73], s[14:15], v[8:9]
	;; [unrolled: 1-line block ×6, first 2 shown]
	v_mul_f64 v[12:13], v[8:9], s[16:17]
	v_fma_f64 v[12:13], v[10:11], s[22:23], v[12:13]
	v_mul_f64 v[10:11], v[10:11], s[14:15]
	v_fma_f64 v[14:15], v[8:9], s[22:23], v[10:11]
	v_fma_f64 v[8:9], v[53:54], s[20:21], v[82:83]
	;; [unrolled: 1-line block ×7, first 2 shown]
	v_add_f64 v[8:9], v[16:17], v[12:13]
	v_add_f64 v[12:13], v[16:17], -v[12:13]
	v_fma_f64 v[16:17], v[72:73], s[20:21], v[86:87]
	v_add_f64 v[10:11], v[20:21], v[14:15]
	v_add_f64 v[14:15], v[20:21], -v[14:15]
	v_fma_f64 v[16:17], v[78:79], s[14:15], v[16:17]
	v_fma_f64 v[16:17], v[26:27], s[12:13], v[16:17]
	v_mul_f64 v[20:21], v[16:17], s[20:21]
	v_mul_f64 v[16:17], v[16:17], s[12:13]
	v_fma_f64 v[20:21], v[18:19], s[12:13], v[20:21]
	v_fma_f64 v[22:23], v[18:19], s[18:19], v[16:17]
	;; [unrolled: 1-line block ×8, first 2 shown]
	v_add_f64 v[16:17], v[38:39], v[20:21]
	v_add_f64 v[20:21], v[38:39], -v[20:21]
	v_fma_f64 v[38:39], v[48:49], s[20:21], v[55:56]
	v_add_f64 v[18:19], v[40:41], v[22:23]
	v_add_f64 v[22:23], v[40:41], -v[22:23]
	v_fma_f64 v[38:39], v[53:54], s[14:15], v[38:39]
	v_fma_f64 v[28:29], v[28:29], s[12:13], v[38:39]
	;; [unrolled: 1-line block ×15, first 2 shown]
	v_mul_f64 v[38:39], v[26:27], s[20:21]
	v_mul_f64 v[26:27], v[26:27], s[24:25]
	v_fma_f64 v[38:39], v[24:25], s[24:25], v[38:39]
	v_fma_f64 v[40:41], v[24:25], s[18:19], v[26:27]
	v_add_f64 v[24:25], v[28:29], v[38:39]
	v_add_f64 v[28:29], v[28:29], -v[38:39]
	v_fma_f64 v[38:39], v[78:79], s[20:21], v[70:71]
	v_add_f64 v[26:27], v[30:31], v[40:41]
	v_add_f64 v[30:31], v[30:31], -v[40:41]
	v_fma_f64 v[40:41], v[53:54], s[18:19], v[82:83]
	v_fma_f64 v[38:39], v[72:73], s[16:17], v[38:39]
	;; [unrolled: 1-line block ×6, first 2 shown]
	v_mul_f64 v[34:35], v[38:39], s[16:17]
	v_mul_f64 v[36:37], v[38:39], s[26:27]
	v_fma_f64 v[38:39], v[32:33], s[26:27], v[34:35]
	v_fma_f64 v[42:43], v[32:33], s[14:15], v[36:37]
	v_add_f64 v[32:33], v[40:41], v[38:39]
	v_add_f64 v[36:37], v[40:41], -v[38:39]
	buffer_load_dword v40, off, s[36:39], 0 offset:1292 ; 4-byte Folded Reload
	v_add_f64 v[34:35], v[44:45], v[42:43]
	v_add_f64 v[38:39], v[44:45], -v[42:43]
	s_waitcnt vmcnt(0)
	ds_write_b128 v40, v[0:3]
	ds_write_b128 v40, v[8:11] offset:16
	ds_write_b128 v40, v[16:19] offset:32
	ds_write_b128 v40, v[24:27] offset:48
	ds_write_b128 v40, v[32:35] offset:64
	ds_write_b128 v40, v[4:7] offset:80
	ds_write_b128 v40, v[12:15] offset:96
	ds_write_b128 v40, v[20:23] offset:112
	ds_write_b128 v40, v[28:31] offset:128
	ds_write_b128 v40, v[36:39] offset:144
	s_waitcnt lgkmcnt(0)
	s_barrier
	buffer_gl0_inv
	ds_read_b128 v[0:3], v52 offset:12960
	s_clause 0x3
	buffer_load_dword v6, off, s[36:39], 0 offset:1228
	buffer_load_dword v7, off, s[36:39], 0 offset:1232
	;; [unrolled: 1-line block ×4, first 2 shown]
	s_waitcnt vmcnt(0) lgkmcnt(0)
	v_mul_f64 v[4:5], v[8:9], v[2:3]
	v_fma_f64 v[4:5], v[6:7], v[0:1], v[4:5]
	v_mul_f64 v[0:1], v[8:9], v[0:1]
	v_fma_f64 v[0:1], v[6:7], v[2:3], -v[0:1]
	ds_read_b128 v[6:9], v52 offset:25920
	s_clause 0x3
	buffer_load_dword v12, off, s[36:39], 0 offset:1244
	buffer_load_dword v13, off, s[36:39], 0 offset:1248
	;; [unrolled: 1-line block ×4, first 2 shown]
	s_waitcnt vmcnt(0) lgkmcnt(0)
	v_mul_f64 v[2:3], v[14:15], v[8:9]
	v_fma_f64 v[10:11], v[12:13], v[6:7], v[2:3]
	v_mul_f64 v[2:3], v[14:15], v[6:7]
	v_fma_f64 v[2:3], v[12:13], v[8:9], -v[2:3]
	ds_read_b128 v[12:15], v52 offset:38880
	s_clause 0x3
	buffer_load_dword v16, off, s[36:39], 0 offset:1260
	buffer_load_dword v17, off, s[36:39], 0 offset:1264
	;; [unrolled: 1-line block ×4, first 2 shown]
	s_waitcnt vmcnt(0) lgkmcnt(0)
	v_mul_f64 v[6:7], v[18:19], v[14:15]
	v_fma_f64 v[8:9], v[16:17], v[12:13], v[6:7]
	v_mul_f64 v[6:7], v[18:19], v[12:13]
	v_add_f64 v[112:113], v[10:11], -v[8:9]
	v_fma_f64 v[6:7], v[16:17], v[14:15], -v[6:7]
	ds_read_b128 v[12:15], v52 offset:51840
	s_clause 0x3
	buffer_load_dword v18, off, s[36:39], 0 offset:1276
	buffer_load_dword v19, off, s[36:39], 0 offset:1280
	;; [unrolled: 1-line block ×4, first 2 shown]
	v_add_f64 v[108:109], v[2:3], -v[6:7]
	s_waitcnt vmcnt(0) lgkmcnt(0)
	v_mul_f64 v[16:17], v[20:21], v[14:15]
	v_fma_f64 v[22:23], v[18:19], v[12:13], v[16:17]
	v_mul_f64 v[12:13], v[20:21], v[12:13]
	v_add_f64 v[114:115], v[4:5], -v[22:23]
	v_fma_f64 v[20:21], v[18:19], v[14:15], -v[12:13]
	ds_read_b128 v[12:15], v52 offset:15120
	s_clause 0x3
	buffer_load_dword v24, off, s[36:39], 0 offset:1212
	buffer_load_dword v25, off, s[36:39], 0 offset:1216
	;; [unrolled: 1-line block ×4, first 2 shown]
	v_add_f64 v[30:31], v[0:1], -v[20:21]
	s_waitcnt vmcnt(0) lgkmcnt(0)
	v_mul_f64 v[16:17], v[26:27], v[14:15]
	v_fma_f64 v[98:99], v[24:25], v[12:13], v[16:17]
	v_mul_f64 v[12:13], v[26:27], v[12:13]
	v_fma_f64 v[92:93], v[24:25], v[14:15], -v[12:13]
	ds_read_b128 v[12:15], v52 offset:28080
	s_clause 0x3
	buffer_load_dword v24, off, s[36:39], 0 offset:1196
	buffer_load_dword v25, off, s[36:39], 0 offset:1200
	buffer_load_dword v26, off, s[36:39], 0 offset:1204
	buffer_load_dword v27, off, s[36:39], 0 offset:1208
	s_waitcnt vmcnt(0) lgkmcnt(0)
	v_mul_f64 v[16:17], v[26:27], v[14:15]
	v_fma_f64 v[186:187], v[24:25], v[12:13], v[16:17]
	v_mul_f64 v[12:13], v[26:27], v[12:13]
	v_fma_f64 v[36:37], v[24:25], v[14:15], -v[12:13]
	ds_read_b128 v[12:15], v52 offset:41040
	s_clause 0x3
	buffer_load_dword v24, off, s[36:39], 0 offset:1180
	buffer_load_dword v25, off, s[36:39], 0 offset:1184
	buffer_load_dword v26, off, s[36:39], 0 offset:1188
	buffer_load_dword v27, off, s[36:39], 0 offset:1192
	;; [unrolled: 11-line block ×19, first 2 shown]
	s_waitcnt vmcnt(0) lgkmcnt(0)
	v_mul_f64 v[16:17], v[26:27], v[14:15]
	v_fma_f64 v[64:65], v[24:25], v[12:13], v[16:17]
	v_mul_f64 v[12:13], v[26:27], v[12:13]
	v_fma_f64 v[62:63], v[24:25], v[14:15], -v[12:13]
	v_add_f64 v[12:13], v[10:11], -v[4:5]
	v_add_f64 v[14:15], v[8:9], -v[22:23]
	ds_read_b128 v[24:27], v52
	v_add_f64 v[16:17], v[12:13], v[14:15]
	v_add_f64 v[12:13], v[2:3], -v[0:1]
	v_add_f64 v[14:15], v[6:7], -v[20:21]
	v_add_f64 v[18:19], v[12:13], v[14:15]
	v_add_f64 v[14:15], v[0:1], v[20:21]
	;; [unrolled: 1-line block ×3, first 2 shown]
	s_waitcnt lgkmcnt(0)
	v_fma_f64 v[110:111], v[14:15], -0.5, v[26:27]
	v_fma_f64 v[28:29], v[12:13], -0.5, v[24:25]
	v_fma_f64 v[14:15], v[112:113], s[20:21], v[110:111]
	v_fma_f64 v[110:111], v[112:113], s[18:19], v[110:111]
	;; [unrolled: 1-line block ×10, first 2 shown]
	v_add_f64 v[110:111], v[2:3], v[6:7]
	v_fma_f64 v[12:13], v[16:17], s[12:13], v[12:13]
	v_fma_f64 v[16:17], v[16:17], s[12:13], v[28:29]
	v_add_f64 v[28:29], v[10:11], v[8:9]
	v_fma_f64 v[110:111], v[110:111], -0.5, v[26:27]
	v_add_f64 v[26:27], v[26:27], v[0:1]
	v_add_f64 v[0:1], v[0:1], -v[2:3]
	v_fma_f64 v[28:29], v[28:29], -0.5, v[24:25]
	v_add_f64 v[24:25], v[24:25], v[4:5]
	v_add_f64 v[4:5], v[4:5], -v[10:11]
	v_add_f64 v[26:27], v[26:27], v[2:3]
	v_add_f64 v[2:3], v[20:21], -v[6:7]
	v_fma_f64 v[116:117], v[30:31], s[18:19], v[28:29]
	v_add_f64 v[24:25], v[24:25], v[10:11]
	v_fma_f64 v[10:11], v[30:31], s[20:21], v[28:29]
	v_add_f64 v[26:27], v[26:27], v[6:7]
	v_fma_f64 v[6:7], v[114:115], s[18:19], v[110:111]
	v_add_f64 v[0:1], v[0:1], v[2:3]
	v_add_f64 v[24:25], v[24:25], v[8:9]
	v_add_f64 v[8:9], v[22:23], -v[8:9]
	v_add_f64 v[30:31], v[26:27], v[20:21]
	v_fma_f64 v[20:21], v[114:115], s[20:21], v[110:111]
	v_fma_f64 v[2:3], v[112:113], s[14:15], v[6:7]
	v_add_f64 v[28:29], v[24:25], v[22:23]
	v_add_f64 v[4:5], v[4:5], v[8:9]
	v_fma_f64 v[8:9], v[108:109], s[16:17], v[10:11]
	v_fma_f64 v[10:11], v[108:109], s[14:15], v[116:117]
	;; [unrolled: 1-line block ×7, first 2 shown]
	ds_read_b128 v[112:115], v52 offset:2160
	ds_read_b128 v[20:23], v52 offset:4320
	;; [unrolled: 1-line block ×5, first 2 shown]
	s_waitcnt lgkmcnt(0)
	s_barrier
	buffer_gl0_inv
	buffer_load_dword v53, off, s[36:39], 0 offset:904 ; 4-byte Folded Reload
	s_waitcnt vmcnt(0)
	ds_write_b128 v53, v[28:31]
	ds_write_b128 v53, v[108:111] offset:160
	ds_write_b128 v53, v[12:15] offset:320
	;; [unrolled: 1-line block ×4, first 2 shown]
	v_add_f64 v[12:13], v[186:187], -v[98:99]
	v_add_f64 v[14:15], v[184:185], -v[182:183]
	;; [unrolled: 1-line block ×6, first 2 shown]
	v_add_f64 v[16:17], v[12:13], v[14:15]
	v_add_f64 v[12:13], v[36:37], -v[92:93]
	v_add_f64 v[14:15], v[34:35], -v[32:33]
	v_add_f64 v[18:19], v[12:13], v[14:15]
	v_add_f64 v[12:13], v[98:99], v[182:183]
	;; [unrolled: 1-line block ×3, first 2 shown]
	v_fma_f64 v[24:25], v[12:13], -0.5, v[112:113]
	v_fma_f64 v[30:31], v[14:15], -0.5, v[114:115]
	v_fma_f64 v[12:13], v[28:29], s[18:19], v[24:25]
	v_fma_f64 v[14:15], v[108:109], s[20:21], v[30:31]
	;; [unrolled: 1-line block ×12, first 2 shown]
	v_add_f64 v[24:25], v[186:187], v[184:185]
	v_add_f64 v[30:31], v[36:37], v[34:35]
	v_fma_f64 v[24:25], v[24:25], -0.5, v[112:113]
	v_fma_f64 v[30:31], v[30:31], -0.5, v[114:115]
	v_add_f64 v[112:113], v[112:113], v[98:99]
	v_add_f64 v[114:115], v[114:115], v[92:93]
	v_add_f64 v[98:99], v[98:99], -v[186:187]
	v_fma_f64 v[116:117], v[26:27], s[20:21], v[24:25]
	v_fma_f64 v[118:119], v[26:27], s[18:19], v[24:25]
	v_add_f64 v[112:113], v[112:113], v[186:187]
	v_add_f64 v[24:25], v[114:115], v[36:37]
	v_add_f64 v[36:37], v[92:93], -v[36:37]
	v_add_f64 v[114:115], v[182:183], -v[184:185]
	v_add_f64 v[26:27], v[112:113], v[184:185]
	v_add_f64 v[112:113], v[24:25], v[34:35]
	;; [unrolled: 1-line block ×3, first 2 shown]
	v_fma_f64 v[98:99], v[28:29], s[16:17], v[116:117]
	v_add_f64 v[24:25], v[26:27], v[182:183]
	v_add_f64 v[26:27], v[112:113], v[32:33]
	v_add_f64 v[32:33], v[32:33], -v[34:35]
	v_fma_f64 v[34:35], v[110:111], s[18:19], v[30:31]
	v_fma_f64 v[30:31], v[110:111], s[20:21], v[30:31]
	v_fma_f64 v[110:111], v[28:29], s[14:15], v[118:119]
	v_fma_f64 v[28:29], v[92:93], s[12:13], v[98:99]
	v_add_f64 v[36:37], v[36:37], v[32:33]
	v_fma_f64 v[32:33], v[108:109], s[14:15], v[34:35]
	v_fma_f64 v[34:35], v[108:109], s[16:17], v[30:31]
	v_fma_f64 v[30:31], v[36:37], s[12:13], v[32:33]
	v_fma_f64 v[34:35], v[36:37], s[12:13], v[34:35]
	buffer_load_dword v36, off, s[36:39], 0 offset:900 ; 4-byte Folded Reload
	v_fma_f64 v[32:33], v[92:93], s[12:13], v[110:111]
	s_waitcnt vmcnt(0)
	ds_write_b128 v36, v[24:27]
	ds_write_b128 v36, v[28:31] offset:160
	ds_write_b128 v36, v[12:15] offset:320
	ds_write_b128 v36, v[16:19] offset:480
	ds_write_b128 v36, v[32:35] offset:640
	v_add_f64 v[12:13], v[86:87], -v[80:81]
	v_add_f64 v[14:15], v[84:85], -v[90:91]
	;; [unrolled: 1-line block ×7, first 2 shown]
	v_add_f64 v[16:17], v[12:13], v[14:15]
	v_add_f64 v[12:13], v[78:79], -v[76:77]
	v_add_f64 v[14:15], v[82:83], -v[88:89]
	v_add_f64 v[18:19], v[12:13], v[14:15]
	v_add_f64 v[14:15], v[76:77], v[88:89]
	;; [unrolled: 1-line block ×3, first 2 shown]
	v_fma_f64 v[30:31], v[14:15], -0.5, v[22:23]
	v_fma_f64 v[24:25], v[12:13], -0.5, v[20:21]
	v_fma_f64 v[14:15], v[32:33], s[20:21], v[30:31]
	v_fma_f64 v[30:31], v[32:33], s[18:19], v[30:31]
	;; [unrolled: 1-line block ×10, first 2 shown]
	v_add_f64 v[30:31], v[78:79], v[82:83]
	v_fma_f64 v[12:13], v[16:17], s[12:13], v[12:13]
	v_fma_f64 v[16:17], v[16:17], s[12:13], v[24:25]
	v_add_f64 v[24:25], v[86:87], v[84:85]
	v_fma_f64 v[30:31], v[30:31], -0.5, v[22:23]
	v_add_f64 v[22:23], v[22:23], v[76:77]
	v_add_f64 v[76:77], v[76:77], -v[78:79]
	v_fma_f64 v[24:25], v[24:25], -0.5, v[20:21]
	v_add_f64 v[20:21], v[20:21], v[80:81]
	v_add_f64 v[22:23], v[22:23], v[78:79]
	v_add_f64 v[78:79], v[88:89], -v[82:83]
	v_fma_f64 v[80:81], v[28:29], s[20:21], v[24:25]
	v_fma_f64 v[24:25], v[28:29], s[18:19], v[24:25]
	v_add_f64 v[28:29], v[90:91], -v[84:85]
	v_add_f64 v[20:21], v[20:21], v[86:87]
	v_add_f64 v[22:23], v[22:23], v[82:83]
	v_fma_f64 v[82:83], v[34:35], s[18:19], v[30:31]
	v_fma_f64 v[30:31], v[34:35], s[20:21], v[30:31]
	;; [unrolled: 1-line block ×3, first 2 shown]
	v_add_f64 v[28:29], v[36:37], v[28:29]
	v_fma_f64 v[36:37], v[26:27], s[14:15], v[24:25]
	v_add_f64 v[20:21], v[20:21], v[84:85]
	v_add_f64 v[76:77], v[76:77], v[78:79]
	;; [unrolled: 1-line block ×3, first 2 shown]
	v_fma_f64 v[26:27], v[32:33], s[14:15], v[82:83]
	v_fma_f64 v[30:31], v[32:33], s[16:17], v[30:31]
	buffer_load_dword v32, off, s[36:39], 0 offset:896 ; 4-byte Folded Reload
	v_fma_f64 v[24:25], v[28:29], s[12:13], v[34:35]
	v_fma_f64 v[28:29], v[28:29], s[12:13], v[36:37]
	v_add_f64 v[20:21], v[20:21], v[90:91]
	v_add_f64 v[36:37], v[60:61], -v[68:69]
	v_fma_f64 v[26:27], v[76:77], s[12:13], v[26:27]
	v_fma_f64 v[30:31], v[76:77], s[12:13], v[30:31]
	s_waitcnt vmcnt(0)
	ds_write_b128 v32, v[20:23]
	ds_write_b128 v32, v[24:27] offset:160
	ds_write_b128 v32, v[12:15] offset:320
	;; [unrolled: 1-line block ×4, first 2 shown]
	v_add_f64 v[12:13], v[70:71], -v[66:67]
	v_add_f64 v[14:15], v[74:75], -v[96:97]
	;; [unrolled: 1-line block ×7, first 2 shown]
	v_add_f64 v[16:17], v[12:13], v[14:15]
	v_add_f64 v[12:13], v[68:69], -v[60:61]
	v_add_f64 v[14:15], v[72:73], -v[94:95]
	v_add_f64 v[18:19], v[12:13], v[14:15]
	v_add_f64 v[12:13], v[66:67], v[96:97]
	v_add_f64 v[14:15], v[60:61], v[94:95]
	v_fma_f64 v[20:21], v[12:13], -0.5, v[8:9]
	v_fma_f64 v[26:27], v[14:15], -0.5, v[10:11]
	v_fma_f64 v[12:13], v[22:23], s[18:19], v[20:21]
	v_fma_f64 v[14:15], v[28:29], s[20:21], v[26:27]
	;; [unrolled: 1-line block ×12, first 2 shown]
	v_add_f64 v[20:21], v[70:71], v[74:75]
	v_add_f64 v[26:27], v[68:69], v[72:73]
	v_fma_f64 v[20:21], v[20:21], -0.5, v[8:9]
	v_fma_f64 v[26:27], v[26:27], -0.5, v[10:11]
	v_add_f64 v[8:9], v[8:9], v[66:67]
	v_add_f64 v[10:11], v[10:11], v[60:61]
	v_add_f64 v[60:61], v[94:95], -v[72:73]
	v_fma_f64 v[34:35], v[24:25], s[20:21], v[20:21]
	v_fma_f64 v[20:21], v[24:25], s[18:19], v[20:21]
	v_add_f64 v[24:25], v[96:97], -v[74:75]
	v_fma_f64 v[66:67], v[30:31], s[18:19], v[26:27]
	v_fma_f64 v[26:27], v[30:31], s[20:21], v[26:27]
	v_add_f64 v[8:9], v[8:9], v[70:71]
	v_add_f64 v[10:11], v[10:11], v[68:69]
	v_fma_f64 v[30:31], v[22:23], s[16:17], v[34:35]
	v_add_f64 v[34:35], v[36:37], v[60:61]
	v_add_f64 v[24:25], v[32:33], v[24:25]
	v_fma_f64 v[32:33], v[22:23], s[14:15], v[20:21]
	v_fma_f64 v[22:23], v[28:29], s[14:15], v[66:67]
	;; [unrolled: 1-line block ×3, first 2 shown]
	buffer_load_dword v28, off, s[36:39], 0 offset:892 ; 4-byte Folded Reload
	v_add_f64 v[8:9], v[8:9], v[74:75]
	v_add_f64 v[10:11], v[10:11], v[72:73]
	v_fma_f64 v[20:21], v[24:25], s[12:13], v[30:31]
	v_fma_f64 v[24:25], v[24:25], s[12:13], v[32:33]
	;; [unrolled: 1-line block ×4, first 2 shown]
	v_add_f64 v[32:33], v[44:45], -v[46:47]
	v_add_f64 v[8:9], v[8:9], v[96:97]
	v_add_f64 v[10:11], v[10:11], v[94:95]
	s_waitcnt vmcnt(0)
	ds_write_b128 v28, v[8:11]
	ds_write_b128 v28, v[20:23] offset:160
	ds_write_b128 v28, v[12:15] offset:320
	;; [unrolled: 1-line block ×4, first 2 shown]
	v_add_f64 v[8:9], v[54:55], -v[48:49]
	v_add_f64 v[10:11], v[38:39], -v[58:59]
	;; [unrolled: 1-line block ×8, first 2 shown]
	v_add_f64 v[12:13], v[8:9], v[10:11]
	v_add_f64 v[8:9], v[46:47], -v[44:45]
	v_add_f64 v[10:11], v[50:51], -v[56:57]
	v_add_f64 v[14:15], v[8:9], v[10:11]
	v_add_f64 v[8:9], v[48:49], v[58:59]
	;; [unrolled: 1-line block ×3, first 2 shown]
	v_fma_f64 v[16:17], v[8:9], -0.5, v[4:5]
	v_fma_f64 v[22:23], v[10:11], -0.5, v[6:7]
	v_fma_f64 v[8:9], v[18:19], s[18:19], v[16:17]
	v_fma_f64 v[10:11], v[24:25], s[20:21], v[22:23]
	;; [unrolled: 1-line block ×12, first 2 shown]
	v_add_f64 v[16:17], v[54:55], v[38:39]
	v_add_f64 v[22:23], v[46:47], v[50:51]
	v_fma_f64 v[16:17], v[16:17], -0.5, v[4:5]
	v_fma_f64 v[22:23], v[22:23], -0.5, v[6:7]
	v_add_f64 v[4:5], v[4:5], v[48:49]
	v_add_f64 v[6:7], v[6:7], v[44:45]
	v_fma_f64 v[30:31], v[20:21], s[20:21], v[16:17]
	v_fma_f64 v[16:17], v[20:21], s[18:19], v[16:17]
	v_add_f64 v[20:21], v[58:59], -v[38:39]
	v_fma_f64 v[36:37], v[26:27], s[18:19], v[22:23]
	v_fma_f64 v[22:23], v[26:27], s[20:21], v[22:23]
	v_add_f64 v[4:5], v[4:5], v[54:55]
	v_add_f64 v[6:7], v[6:7], v[46:47]
	v_fma_f64 v[26:27], v[18:19], s[16:17], v[30:31]
	v_add_f64 v[30:31], v[32:33], v[34:35]
	v_add_f64 v[20:21], v[28:29], v[20:21]
	v_fma_f64 v[28:29], v[18:19], s[14:15], v[16:17]
	v_fma_f64 v[18:19], v[24:25], s[14:15], v[36:37]
	;; [unrolled: 1-line block ×3, first 2 shown]
	buffer_load_dword v24, off, s[36:39], 0 offset:888 ; 4-byte Folded Reload
	v_add_f64 v[4:5], v[4:5], v[38:39]
	v_add_f64 v[6:7], v[6:7], v[50:51]
	v_fma_f64 v[16:17], v[20:21], s[12:13], v[26:27]
	v_fma_f64 v[20:21], v[20:21], s[12:13], v[28:29]
	;; [unrolled: 1-line block ×4, first 2 shown]
	v_add_f64 v[28:29], v[106:107], -v[102:103]
	v_add_f64 v[4:5], v[4:5], v[58:59]
	v_add_f64 v[6:7], v[6:7], v[56:57]
	s_waitcnt vmcnt(0)
	ds_write_b128 v24, v[4:7]
	ds_write_b128 v24, v[16:19] offset:160
	ds_write_b128 v24, v[8:11] offset:320
	;; [unrolled: 1-line block ×4, first 2 shown]
	v_add_f64 v[4:5], v[100:101], -v[104:105]
	v_add_f64 v[6:7], v[42:43], -v[64:65]
	;; [unrolled: 1-line block ×8, first 2 shown]
	v_add_f64 v[8:9], v[4:5], v[6:7]
	v_add_f64 v[4:5], v[102:103], -v[106:107]
	v_add_f64 v[6:7], v[40:41], -v[62:63]
	v_add_f64 v[10:11], v[4:5], v[6:7]
	v_add_f64 v[4:5], v[104:105], v[64:65]
	;; [unrolled: 1-line block ×3, first 2 shown]
	v_fma_f64 v[12:13], v[4:5], -0.5, v[0:1]
	v_fma_f64 v[18:19], v[6:7], -0.5, v[2:3]
	v_fma_f64 v[4:5], v[14:15], s[18:19], v[12:13]
	v_fma_f64 v[6:7], v[20:21], s[20:21], v[18:19]
	;; [unrolled: 1-line block ×12, first 2 shown]
	v_add_f64 v[12:13], v[100:101], v[42:43]
	v_add_f64 v[18:19], v[102:103], v[40:41]
	v_fma_f64 v[12:13], v[12:13], -0.5, v[0:1]
	v_fma_f64 v[18:19], v[18:19], -0.5, v[2:3]
	v_add_f64 v[0:1], v[0:1], v[104:105]
	v_add_f64 v[2:3], v[2:3], v[106:107]
	v_fma_f64 v[26:27], v[16:17], s[20:21], v[12:13]
	v_fma_f64 v[12:13], v[16:17], s[18:19], v[12:13]
	v_add_f64 v[16:17], v[64:65], -v[42:43]
	v_fma_f64 v[32:33], v[22:23], s[18:19], v[18:19]
	v_fma_f64 v[18:19], v[22:23], s[20:21], v[18:19]
	v_add_f64 v[0:1], v[0:1], v[100:101]
	v_add_f64 v[2:3], v[2:3], v[102:103]
	v_fma_f64 v[22:23], v[14:15], s[16:17], v[26:27]
	v_add_f64 v[26:27], v[28:29], v[30:31]
	v_add_f64 v[16:17], v[24:25], v[16:17]
	v_fma_f64 v[24:25], v[14:15], s[14:15], v[12:13]
	v_fma_f64 v[14:15], v[20:21], s[14:15], v[32:33]
	;; [unrolled: 1-line block ×3, first 2 shown]
	buffer_load_dword v20, off, s[36:39], 0 offset:880 ; 4-byte Folded Reload
	v_add_f64 v[0:1], v[0:1], v[42:43]
	v_add_f64 v[2:3], v[2:3], v[40:41]
	v_fma_f64 v[12:13], v[16:17], s[12:13], v[22:23]
	v_fma_f64 v[16:17], v[16:17], s[12:13], v[24:25]
	;; [unrolled: 1-line block ×4, first 2 shown]
	v_add_f64 v[0:1], v[0:1], v[64:65]
	v_add_f64 v[2:3], v[2:3], v[62:63]
	s_waitcnt vmcnt(0)
	ds_write_b128 v20, v[0:3]
	ds_write_b128 v20, v[12:15] offset:160
	ds_write_b128 v20, v[4:7] offset:320
	;; [unrolled: 1-line block ×4, first 2 shown]
	s_waitcnt lgkmcnt(0)
	s_barrier
	buffer_gl0_inv
	ds_read_b128 v[0:3], v52 offset:21600
	s_clause 0x3
	buffer_load_dword v6, off, s[36:39], 0 offset:848
	buffer_load_dword v7, off, s[36:39], 0 offset:852
	;; [unrolled: 1-line block ×4, first 2 shown]
	s_waitcnt vmcnt(0) lgkmcnt(0)
	v_mul_f64 v[4:5], v[8:9], v[2:3]
	v_fma_f64 v[72:73], v[6:7], v[0:1], v[4:5]
	v_mul_f64 v[0:1], v[8:9], v[0:1]
	v_fma_f64 v[80:81], v[6:7], v[2:3], -v[0:1]
	ds_read_b128 v[0:3], v52 offset:43200
	s_clause 0x3
	buffer_load_dword v6, off, s[36:39], 0 offset:864
	buffer_load_dword v7, off, s[36:39], 0 offset:868
	;; [unrolled: 1-line block ×4, first 2 shown]
	s_waitcnt vmcnt(0) lgkmcnt(0)
	v_mul_f64 v[4:5], v[8:9], v[2:3]
	v_fma_f64 v[82:83], v[6:7], v[0:1], v[4:5]
	v_mul_f64 v[0:1], v[8:9], v[0:1]
	v_fma_f64 v[84:85], v[6:7], v[2:3], -v[0:1]
	ds_read_b128 v[0:3], v52 offset:23760
	s_clause 0x3
	buffer_load_dword v6, off, s[36:39], 0 offset:832
	buffer_load_dword v7, off, s[36:39], 0 offset:836
	;; [unrolled: 1-line block ×4, first 2 shown]
	v_add_f64 v[90:91], v[80:81], -v[84:85]
	s_waitcnt vmcnt(0) lgkmcnt(0)
	v_mul_f64 v[4:5], v[8:9], v[2:3]
	v_fma_f64 v[50:51], v[6:7], v[0:1], v[4:5]
	v_mul_f64 v[0:1], v[8:9], v[0:1]
	v_fma_f64 v[58:59], v[6:7], v[2:3], -v[0:1]
	ds_read_b128 v[0:3], v52 offset:45360
	s_clause 0x3
	buffer_load_dword v6, off, s[36:39], 0 offset:688
	buffer_load_dword v7, off, s[36:39], 0 offset:692
	buffer_load_dword v8, off, s[36:39], 0 offset:696
	buffer_load_dword v9, off, s[36:39], 0 offset:700
	s_waitcnt vmcnt(0) lgkmcnt(0)
	v_mul_f64 v[4:5], v[8:9], v[2:3]
	v_fma_f64 v[68:69], v[6:7], v[0:1], v[4:5]
	v_mul_f64 v[0:1], v[8:9], v[0:1]
	v_fma_f64 v[70:71], v[6:7], v[2:3], -v[0:1]
	ds_read_b128 v[0:3], v52 offset:25920
	s_clause 0x3
	buffer_load_dword v6, off, s[36:39], 0 offset:784
	buffer_load_dword v7, off, s[36:39], 0 offset:788
	buffer_load_dword v8, off, s[36:39], 0 offset:792
	buffer_load_dword v9, off, s[36:39], 0 offset:796
	s_waitcnt vmcnt(0) lgkmcnt(0)
	v_mul_f64 v[4:5], v[8:9], v[2:3]
	v_fma_f64 v[48:49], v[6:7], v[0:1], v[4:5]
	v_mul_f64 v[0:1], v[8:9], v[0:1]
	v_fma_f64 v[54:55], v[6:7], v[2:3], -v[0:1]
	ds_read_b128 v[0:3], v52 offset:47520
	s_clause 0x3
	buffer_load_dword v6, off, s[36:39], 0 offset:816
	buffer_load_dword v7, off, s[36:39], 0 offset:820
	buffer_load_dword v8, off, s[36:39], 0 offset:824
	buffer_load_dword v9, off, s[36:39], 0 offset:828
	s_waitcnt vmcnt(0) lgkmcnt(0)
	v_mul_f64 v[4:5], v[8:9], v[2:3]
	v_fma_f64 v[56:57], v[6:7], v[0:1], v[4:5]
	v_mul_f64 v[0:1], v[8:9], v[0:1]
	v_fma_f64 v[62:63], v[6:7], v[2:3], -v[0:1]
	ds_read_b128 v[0:3], v52 offset:28080
	s_clause 0x3
	buffer_load_dword v6, off, s[36:39], 0 offset:800
	buffer_load_dword v7, off, s[36:39], 0 offset:804
	buffer_load_dword v8, off, s[36:39], 0 offset:808
	buffer_load_dword v9, off, s[36:39], 0 offset:812
	s_waitcnt vmcnt(0) lgkmcnt(0)
	v_mul_f64 v[4:5], v[8:9], v[2:3]
	v_fma_f64 v[34:35], v[6:7], v[0:1], v[4:5]
	v_mul_f64 v[0:1], v[8:9], v[0:1]
	v_fma_f64 v[42:43], v[6:7], v[2:3], -v[0:1]
	ds_read_b128 v[0:3], v52 offset:49680
	s_clause 0x3
	buffer_load_dword v6, off, s[36:39], 0 offset:608
	buffer_load_dword v7, off, s[36:39], 0 offset:612
	buffer_load_dword v8, off, s[36:39], 0 offset:616
	buffer_load_dword v9, off, s[36:39], 0 offset:620
	s_waitcnt vmcnt(0) lgkmcnt(0)
	v_mul_f64 v[4:5], v[8:9], v[2:3]
	v_fma_f64 v[64:65], v[6:7], v[0:1], v[4:5]
	v_mul_f64 v[0:1], v[8:9], v[0:1]
	v_fma_f64 v[66:67], v[6:7], v[2:3], -v[0:1]
	ds_read_b128 v[0:3], v52 offset:30240
	s_clause 0x3
	buffer_load_dword v6, off, s[36:39], 0 offset:736
	buffer_load_dword v7, off, s[36:39], 0 offset:740
	buffer_load_dword v8, off, s[36:39], 0 offset:744
	buffer_load_dword v9, off, s[36:39], 0 offset:748
	s_waitcnt vmcnt(0) lgkmcnt(0)
	v_mul_f64 v[4:5], v[8:9], v[2:3]
	v_fma_f64 v[32:33], v[6:7], v[0:1], v[4:5]
	v_mul_f64 v[0:1], v[8:9], v[0:1]
	v_fma_f64 v[38:39], v[6:7], v[2:3], -v[0:1]
	ds_read_b128 v[0:3], v52 offset:51840
	s_clause 0x3
	buffer_load_dword v6, off, s[36:39], 0 offset:768
	buffer_load_dword v7, off, s[36:39], 0 offset:772
	buffer_load_dword v8, off, s[36:39], 0 offset:776
	buffer_load_dword v9, off, s[36:39], 0 offset:780
	s_waitcnt vmcnt(0) lgkmcnt(0)
	v_mul_f64 v[4:5], v[8:9], v[2:3]
	v_fma_f64 v[40:41], v[6:7], v[0:1], v[4:5]
	v_mul_f64 v[0:1], v[8:9], v[0:1]
	v_fma_f64 v[46:47], v[6:7], v[2:3], -v[0:1]
	ds_read_b128 v[0:3], v52 offset:32400
	s_clause 0x3
	buffer_load_dword v6, off, s[36:39], 0 offset:752
	buffer_load_dword v7, off, s[36:39], 0 offset:756
	buffer_load_dword v8, off, s[36:39], 0 offset:760
	buffer_load_dword v9, off, s[36:39], 0 offset:764
	s_waitcnt vmcnt(0) lgkmcnt(0)
	v_mul_f64 v[4:5], v[8:9], v[2:3]
	v_fma_f64 v[18:19], v[6:7], v[0:1], v[4:5]
	v_mul_f64 v[0:1], v[8:9], v[0:1]
	v_fma_f64 v[26:27], v[6:7], v[2:3], -v[0:1]
	ds_read_b128 v[0:3], v52 offset:54000
	s_clause 0x3
	buffer_load_dword v6, off, s[36:39], 0 offset:592
	buffer_load_dword v7, off, s[36:39], 0 offset:596
	buffer_load_dword v8, off, s[36:39], 0 offset:600
	buffer_load_dword v9, off, s[36:39], 0 offset:604
	s_waitcnt vmcnt(0) lgkmcnt(0)
	v_mul_f64 v[4:5], v[8:9], v[2:3]
	v_fma_f64 v[74:75], v[6:7], v[0:1], v[4:5]
	v_mul_f64 v[0:1], v[8:9], v[0:1]
	v_fma_f64 v[60:61], v[6:7], v[2:3], -v[0:1]
	ds_read_b128 v[0:3], v52 offset:34560
	s_clause 0x3
	buffer_load_dword v6, off, s[36:39], 0 offset:672
	buffer_load_dword v7, off, s[36:39], 0 offset:676
	buffer_load_dword v8, off, s[36:39], 0 offset:680
	buffer_load_dword v9, off, s[36:39], 0 offset:684
	s_waitcnt vmcnt(0) lgkmcnt(0)
	v_mul_f64 v[4:5], v[8:9], v[2:3]
	v_fma_f64 v[16:17], v[6:7], v[0:1], v[4:5]
	v_mul_f64 v[0:1], v[8:9], v[0:1]
	v_fma_f64 v[22:23], v[6:7], v[2:3], -v[0:1]
	ds_read_b128 v[0:3], v52 offset:56160
	s_clause 0x3
	buffer_load_dword v6, off, s[36:39], 0 offset:704
	buffer_load_dword v7, off, s[36:39], 0 offset:708
	buffer_load_dword v8, off, s[36:39], 0 offset:712
	buffer_load_dword v9, off, s[36:39], 0 offset:716
	s_waitcnt vmcnt(0) lgkmcnt(0)
	v_mul_f64 v[4:5], v[8:9], v[2:3]
	v_fma_f64 v[24:25], v[6:7], v[0:1], v[4:5]
	v_mul_f64 v[0:1], v[8:9], v[0:1]
	v_fma_f64 v[30:31], v[6:7], v[2:3], -v[0:1]
	ds_read_b128 v[0:3], v52 offset:36720
	s_clause 0x3
	buffer_load_dword v8, off, s[36:39], 0 offset:720
	buffer_load_dword v9, off, s[36:39], 0 offset:724
	buffer_load_dword v10, off, s[36:39], 0 offset:728
	buffer_load_dword v11, off, s[36:39], 0 offset:732
	s_waitcnt vmcnt(0) lgkmcnt(0)
	v_mul_f64 v[4:5], v[10:11], v[2:3]
	v_fma_f64 v[6:7], v[8:9], v[0:1], v[4:5]
	v_mul_f64 v[0:1], v[10:11], v[0:1]
	v_fma_f64 v[12:13], v[8:9], v[2:3], -v[0:1]
	ds_read_b128 v[0:3], v52 offset:58320
	s_clause 0x3
	buffer_load_dword v8, off, s[36:39], 0 offset:576
	buffer_load_dword v9, off, s[36:39], 0 offset:580
	buffer_load_dword v10, off, s[36:39], 0 offset:584
	buffer_load_dword v11, off, s[36:39], 0 offset:588
	s_waitcnt vmcnt(0) lgkmcnt(0)
	v_mul_f64 v[4:5], v[10:11], v[2:3]
	v_fma_f64 v[36:37], v[8:9], v[0:1], v[4:5]
	v_mul_f64 v[0:1], v[10:11], v[0:1]
	v_fma_f64 v[44:45], v[8:9], v[2:3], -v[0:1]
	ds_read_b128 v[0:3], v52 offset:38880
	s_clause 0x3
	buffer_load_dword v8, off, s[36:39], 0 offset:624
	buffer_load_dword v9, off, s[36:39], 0 offset:628
	buffer_load_dword v10, off, s[36:39], 0 offset:632
	buffer_load_dword v11, off, s[36:39], 0 offset:636
	s_waitcnt vmcnt(0) lgkmcnt(0)
	v_mul_f64 v[4:5], v[10:11], v[2:3]
	v_fma_f64 v[4:5], v[8:9], v[0:1], v[4:5]
	v_mul_f64 v[0:1], v[10:11], v[0:1]
	v_fma_f64 v[8:9], v[8:9], v[2:3], -v[0:1]
	ds_read_b128 v[0:3], v52 offset:60480
	s_clause 0x3
	buffer_load_dword v76, off, s[36:39], 0 offset:640
	buffer_load_dword v77, off, s[36:39], 0 offset:644
	buffer_load_dword v78, off, s[36:39], 0 offset:648
	buffer_load_dword v79, off, s[36:39], 0 offset:652
	s_waitcnt vmcnt(0) lgkmcnt(0)
	v_mul_f64 v[10:11], v[78:79], v[2:3]
	v_fma_f64 v[10:11], v[76:77], v[0:1], v[10:11]
	v_mul_f64 v[0:1], v[78:79], v[0:1]
	v_fma_f64 v[14:15], v[76:77], v[2:3], -v[0:1]
	ds_read_b128 v[76:79], v52 offset:41040
	s_clause 0x3
	buffer_load_dword v86, off, s[36:39], 0 offset:656
	buffer_load_dword v87, off, s[36:39], 0 offset:660
	buffer_load_dword v88, off, s[36:39], 0 offset:664
	buffer_load_dword v89, off, s[36:39], 0 offset:668
	s_waitcnt vmcnt(0) lgkmcnt(0)
	v_mul_f64 v[0:1], v[88:89], v[78:79]
	v_mul_f64 v[2:3], v[88:89], v[76:77]
	v_fma_f64 v[0:1], v[86:87], v[76:77], v[0:1]
	v_fma_f64 v[2:3], v[86:87], v[78:79], -v[2:3]
	ds_read_b128 v[76:79], v52 offset:62640
	s_clause 0x3
	buffer_load_dword v86, off, s[36:39], 0 offset:560
	buffer_load_dword v87, off, s[36:39], 0 offset:564
	;; [unrolled: 1-line block ×4, first 2 shown]
	s_waitcnt vmcnt(0) lgkmcnt(0)
	v_mul_f64 v[20:21], v[88:89], v[78:79]
	v_mul_f64 v[28:29], v[88:89], v[76:77]
	v_add_f64 v[88:89], v[80:81], v[84:85]
	v_fma_f64 v[20:21], v[86:87], v[76:77], v[20:21]
	v_fma_f64 v[28:29], v[86:87], v[78:79], -v[28:29]
	v_add_f64 v[86:87], v[72:73], v[82:83]
	ds_read_b128 v[76:79], v52
	s_waitcnt lgkmcnt(0)
	v_fma_f64 v[88:89], v[88:89], -0.5, v[78:79]
	v_fma_f64 v[86:87], v[86:87], -0.5, v[76:77]
	v_add_f64 v[78:79], v[78:79], v[80:81]
	v_add_f64 v[76:77], v[76:77], v[72:73]
	v_add_f64 v[72:73], v[72:73], -v[82:83]
	v_fma_f64 v[80:81], v[90:91], s[6:7], v[86:87]
	v_add_f64 v[78:79], v[78:79], v[84:85]
	v_add_f64 v[76:77], v[76:77], v[82:83]
	v_fma_f64 v[84:85], v[90:91], s[8:9], v[86:87]
	v_fma_f64 v[82:83], v[72:73], s[8:9], v[88:89]
	;; [unrolled: 1-line block ×3, first 2 shown]
	ds_read_b128 v[88:91], v52 offset:2160
	ds_read_b128 v[92:95], v52 offset:4320
	;; [unrolled: 1-line block ×9, first 2 shown]
	s_waitcnt lgkmcnt(0)
	s_barrier
	buffer_gl0_inv
	buffer_load_dword v53, off, s[36:39], 0 offset:556 ; 4-byte Folded Reload
	v_add_f64 v[72:73], v[50:51], v[68:69]
	s_waitcnt vmcnt(0)
	ds_write_b128 v53, v[76:79]
	ds_write_b128 v53, v[80:83] offset:800
	ds_write_b128 v53, v[84:87] offset:1600
	v_fma_f64 v[78:79], v[72:73], -0.5, v[88:89]
	v_add_f64 v[72:73], v[58:59], v[70:71]
	v_add_f64 v[76:77], v[88:89], v[50:51]
	v_add_f64 v[50:51], v[50:51], -v[68:69]
	v_fma_f64 v[82:83], v[72:73], -0.5, v[90:91]
	v_add_f64 v[72:73], v[90:91], v[58:59]
	v_add_f64 v[58:59], v[58:59], -v[70:71]
	v_add_f64 v[72:73], v[72:73], v[70:71]
	v_add_f64 v[70:71], v[76:77], v[68:69]
	v_fma_f64 v[76:77], v[58:59], s[6:7], v[78:79]
	v_fma_f64 v[80:81], v[58:59], s[8:9], v[78:79]
	;; [unrolled: 1-line block ×4, first 2 shown]
	buffer_load_dword v50, off, s[36:39], 0 offset:552 ; 4-byte Folded Reload
	s_waitcnt vmcnt(0)
	ds_write_b128 v50, v[70:73]
	ds_write_b128 v50, v[76:79] offset:800
	ds_write_b128 v50, v[80:83] offset:1600
	v_add_f64 v[68:69], v[94:95], v[54:55]
	v_add_f64 v[72:73], v[92:93], v[48:49]
	v_add_f64 v[50:51], v[48:49], v[56:57]
	v_add_f64 v[58:59], v[54:55], v[62:63]
	v_add_f64 v[53:54], v[54:55], -v[62:63]
	v_add_f64 v[70:71], v[68:69], v[62:63]
	v_add_f64 v[68:69], v[72:73], v[56:57]
	v_add_f64 v[55:56], v[48:49], -v[56:57]
	buffer_load_dword v57, off, s[36:39], 0 offset:548 ; 4-byte Folded Reload
	v_fma_f64 v[50:51], v[50:51], -0.5, v[92:93]
	v_fma_f64 v[58:59], v[58:59], -0.5, v[94:95]
	v_fma_f64 v[48:49], v[53:54], s[6:7], v[50:51]
	v_fma_f64 v[53:54], v[53:54], s[8:9], v[50:51]
	;; [unrolled: 1-line block ×4, first 2 shown]
	s_waitcnt vmcnt(0)
	ds_write_b128 v57, v[68:71]
	ds_write_b128 v57, v[48:51] offset:800
	ds_write_b128 v57, v[53:56] offset:1600
	v_add_f64 v[48:49], v[34:35], v[64:65]
	v_add_f64 v[53:54], v[96:97], v[34:35]
	v_add_f64 v[34:35], v[34:35], -v[64:65]
	v_fma_f64 v[55:56], v[48:49], -0.5, v[96:97]
	v_add_f64 v[48:49], v[42:43], v[66:67]
	v_fma_f64 v[57:58], v[48:49], -0.5, v[98:99]
	v_add_f64 v[48:49], v[98:99], v[42:43]
	v_add_f64 v[42:43], v[42:43], -v[66:67]
	v_add_f64 v[50:51], v[48:49], v[66:67]
	v_add_f64 v[48:49], v[53:54], v[64:65]
	v_fma_f64 v[53:54], v[42:43], s[6:7], v[55:56]
	v_fma_f64 v[62:63], v[42:43], s[8:9], v[55:56]
	;; [unrolled: 1-line block ×4, first 2 shown]
	buffer_load_dword v34, off, s[36:39], 0 offset:544 ; 4-byte Folded Reload
	s_waitcnt vmcnt(0)
	ds_write_b128 v34, v[48:51]
	ds_write_b128 v34, v[53:56] offset:800
	ds_write_b128 v34, v[62:65] offset:1600
	v_add_f64 v[34:35], v[32:33], v[40:41]
	v_add_f64 v[42:43], v[38:39], v[46:47]
	;; [unrolled: 1-line block ×4, first 2 shown]
	v_add_f64 v[38:39], v[38:39], -v[46:47]
	v_fma_f64 v[34:35], v[34:35], -0.5, v[100:101]
	v_fma_f64 v[42:43], v[42:43], -0.5, v[102:103]
	v_add_f64 v[48:49], v[48:49], v[46:47]
	v_add_f64 v[46:47], v[50:51], v[40:41]
	v_add_f64 v[40:41], v[32:33], -v[40:41]
	v_fma_f64 v[32:33], v[38:39], s[6:7], v[34:35]
	v_fma_f64 v[38:39], v[38:39], s[8:9], v[34:35]
	;; [unrolled: 1-line block ×4, first 2 shown]
	buffer_load_dword v42, off, s[36:39], 0 offset:540 ; 4-byte Folded Reload
	s_waitcnt vmcnt(0)
	ds_write_b128 v42, v[46:49]
	ds_write_b128 v42, v[32:35] offset:800
	ds_write_b128 v42, v[38:41] offset:1600
	v_add_f64 v[32:33], v[18:19], v[74:75]
	v_add_f64 v[38:39], v[104:105], v[18:19]
	v_add_f64 v[18:19], v[18:19], -v[74:75]
	v_fma_f64 v[40:41], v[32:33], -0.5, v[104:105]
	v_add_f64 v[32:33], v[26:27], v[60:61]
	v_fma_f64 v[42:43], v[32:33], -0.5, v[106:107]
	v_add_f64 v[32:33], v[106:107], v[26:27]
	v_add_f64 v[26:27], v[26:27], -v[60:61]
	v_fma_f64 v[48:49], v[18:19], s[6:7], v[42:43]
	v_add_f64 v[34:35], v[32:33], v[60:61]
	v_add_f64 v[32:33], v[38:39], v[74:75]
	v_fma_f64 v[38:39], v[26:27], s[6:7], v[40:41]
	v_fma_f64 v[46:47], v[26:27], s[8:9], v[40:41]
	;; [unrolled: 1-line block ×3, first 2 shown]
	buffer_load_dword v18, off, s[36:39], 0 offset:536 ; 4-byte Folded Reload
	s_waitcnt vmcnt(0)
	ds_write_b128 v18, v[32:35]
	ds_write_b128 v18, v[38:41] offset:800
	ds_write_b128 v18, v[46:49] offset:1600
	v_add_f64 v[18:19], v[16:17], v[24:25]
	v_add_f64 v[26:27], v[22:23], v[30:31]
	;; [unrolled: 1-line block ×4, first 2 shown]
	v_add_f64 v[22:23], v[22:23], -v[30:31]
	v_fma_f64 v[18:19], v[18:19], -0.5, v[108:109]
	v_fma_f64 v[26:27], v[26:27], -0.5, v[110:111]
	v_add_f64 v[32:33], v[32:33], v[30:31]
	v_add_f64 v[30:31], v[34:35], v[24:25]
	v_add_f64 v[24:25], v[16:17], -v[24:25]
	v_fma_f64 v[16:17], v[22:23], s[6:7], v[18:19]
	v_fma_f64 v[22:23], v[22:23], s[8:9], v[18:19]
	;; [unrolled: 1-line block ×4, first 2 shown]
	buffer_load_dword v26, off, s[36:39], 0 offset:532 ; 4-byte Folded Reload
	s_waitcnt vmcnt(0)
	ds_write_b128 v26, v[30:33]
	ds_write_b128 v26, v[16:19] offset:800
	ds_write_b128 v26, v[22:25] offset:1600
	v_add_f64 v[16:17], v[6:7], v[36:37]
	v_add_f64 v[22:23], v[112:113], v[6:7]
	v_add_f64 v[6:7], v[6:7], -v[36:37]
	v_fma_f64 v[24:25], v[16:17], -0.5, v[112:113]
	v_add_f64 v[16:17], v[12:13], v[44:45]
	v_fma_f64 v[26:27], v[16:17], -0.5, v[114:115]
	v_add_f64 v[16:17], v[114:115], v[12:13]
	v_add_f64 v[12:13], v[12:13], -v[44:45]
	v_fma_f64 v[32:33], v[6:7], s[6:7], v[26:27]
	v_add_f64 v[18:19], v[16:17], v[44:45]
	v_add_f64 v[16:17], v[22:23], v[36:37]
	v_fma_f64 v[22:23], v[12:13], s[6:7], v[24:25]
	v_fma_f64 v[30:31], v[12:13], s[8:9], v[24:25]
	;; [unrolled: 1-line block ×3, first 2 shown]
	buffer_load_dword v6, off, s[36:39], 0 offset:528 ; 4-byte Folded Reload
	s_waitcnt vmcnt(0)
	ds_write_b128 v6, v[16:19]
	ds_write_b128 v6, v[22:25] offset:800
	ds_write_b128 v6, v[30:33] offset:1600
	v_add_f64 v[6:7], v[4:5], v[10:11]
	v_add_f64 v[18:19], v[116:117], v[4:5]
	v_add_f64 v[22:23], v[8:9], -v[14:15]
	v_add_f64 v[4:5], v[4:5], -v[10:11]
	v_fma_f64 v[12:13], v[6:7], -0.5, v[116:117]
	v_add_f64 v[6:7], v[8:9], v[14:15]
	v_fma_f64 v[16:17], v[6:7], -0.5, v[118:119]
	v_add_f64 v[6:7], v[118:119], v[8:9]
	v_add_f64 v[8:9], v[6:7], v[14:15]
	;; [unrolled: 1-line block ×3, first 2 shown]
	v_fma_f64 v[10:11], v[22:23], s[6:7], v[12:13]
	v_fma_f64 v[14:15], v[22:23], s[8:9], v[12:13]
	;; [unrolled: 1-line block ×4, first 2 shown]
	buffer_load_dword v4, off, s[36:39], 0 offset:524 ; 4-byte Folded Reload
	s_waitcnt vmcnt(0)
	ds_write_b128 v4, v[6:9]
	ds_write_b128 v4, v[10:13] offset:800
	ds_write_b128 v4, v[14:17] offset:1600
	v_add_f64 v[4:5], v[0:1], v[20:21]
	v_add_f64 v[6:7], v[120:121], v[0:1]
	v_add_f64 v[10:11], v[2:3], -v[28:29]
	v_add_f64 v[0:1], v[0:1], -v[20:21]
	v_fma_f64 v[8:9], v[4:5], -0.5, v[120:121]
	v_add_f64 v[4:5], v[2:3], v[28:29]
	v_fma_f64 v[12:13], v[4:5], -0.5, v[122:123]
	v_add_f64 v[4:5], v[122:123], v[2:3]
	v_add_f64 v[2:3], v[6:7], v[20:21]
	v_fma_f64 v[6:7], v[10:11], s[6:7], v[8:9]
	v_fma_f64 v[10:11], v[10:11], s[8:9], v[8:9]
	;; [unrolled: 1-line block ×4, first 2 shown]
	buffer_load_dword v0, off, s[36:39], 0 offset:520 ; 4-byte Folded Reload
	v_add_f64 v[4:5], v[4:5], v[28:29]
	s_waitcnt vmcnt(0)
	ds_write_b128 v0, v[2:5]
	ds_write_b128 v0, v[6:9] offset:800
	ds_write_b128 v0, v[10:13] offset:1600
	s_waitcnt lgkmcnt(0)
	s_barrier
	buffer_gl0_inv
	ds_read_b128 v[0:3], v52 offset:21600
	s_clause 0x3
	buffer_load_dword v6, off, s[36:39], 0 offset:488
	buffer_load_dword v7, off, s[36:39], 0 offset:492
	;; [unrolled: 1-line block ×4, first 2 shown]
	s_waitcnt vmcnt(0) lgkmcnt(0)
	v_mul_f64 v[4:5], v[8:9], v[2:3]
	v_fma_f64 v[64:65], v[6:7], v[0:1], v[4:5]
	v_mul_f64 v[0:1], v[8:9], v[0:1]
	v_fma_f64 v[72:73], v[6:7], v[2:3], -v[0:1]
	ds_read_b128 v[0:3], v52 offset:43200
	s_clause 0x3
	buffer_load_dword v6, off, s[36:39], 0 offset:504
	buffer_load_dword v7, off, s[36:39], 0 offset:508
	;; [unrolled: 1-line block ×4, first 2 shown]
	s_waitcnt vmcnt(0) lgkmcnt(0)
	v_mul_f64 v[4:5], v[8:9], v[2:3]
	v_fma_f64 v[74:75], v[6:7], v[0:1], v[4:5]
	v_mul_f64 v[0:1], v[8:9], v[0:1]
	v_fma_f64 v[76:77], v[6:7], v[2:3], -v[0:1]
	ds_read_b128 v[0:3], v52 offset:23760
	s_clause 0x3
	buffer_load_dword v6, off, s[36:39], 0 offset:1572
	buffer_load_dword v7, off, s[36:39], 0 offset:1576
	;; [unrolled: 1-line block ×4, first 2 shown]
	v_add_f64 v[82:83], v[72:73], -v[76:77]
	s_waitcnt vmcnt(0) lgkmcnt(0)
	v_mul_f64 v[4:5], v[8:9], v[2:3]
	v_fma_f64 v[84:85], v[6:7], v[0:1], v[4:5]
	v_mul_f64 v[0:1], v[8:9], v[0:1]
	v_fma_f64 v[86:87], v[6:7], v[2:3], -v[0:1]
	ds_read_b128 v[0:3], v52 offset:45360
	s_clause 0x3
	buffer_load_dword v6, off, s[36:39], 0 offset:1428
	buffer_load_dword v7, off, s[36:39], 0 offset:1432
	;; [unrolled: 1-line block ×4, first 2 shown]
	s_waitcnt vmcnt(0) lgkmcnt(0)
	v_mul_f64 v[4:5], v[8:9], v[2:3]
	v_fma_f64 v[88:89], v[6:7], v[0:1], v[4:5]
	v_mul_f64 v[0:1], v[8:9], v[0:1]
	v_fma_f64 v[90:91], v[6:7], v[2:3], -v[0:1]
	ds_read_b128 v[0:3], v52 offset:25920
	s_clause 0x3
	buffer_load_dword v6, off, s[36:39], 0 offset:1508
	buffer_load_dword v7, off, s[36:39], 0 offset:1512
	;; [unrolled: 1-line block ×4, first 2 shown]
	v_add_f64 v[92:93], v[86:87], v[90:91]
	s_waitcnt vmcnt(0) lgkmcnt(0)
	v_mul_f64 v[4:5], v[8:9], v[2:3]
	v_fma_f64 v[48:49], v[6:7], v[0:1], v[4:5]
	v_mul_f64 v[0:1], v[8:9], v[0:1]
	v_fma_f64 v[66:67], v[6:7], v[2:3], -v[0:1]
	ds_read_b128 v[0:3], v52 offset:47520
	s_clause 0x3
	buffer_load_dword v6, off, s[36:39], 0 offset:1588
	buffer_load_dword v7, off, s[36:39], 0 offset:1592
	buffer_load_dword v8, off, s[36:39], 0 offset:1596
	buffer_load_dword v9, off, s[36:39], 0 offset:1600
	s_waitcnt vmcnt(0) lgkmcnt(0)
	v_mul_f64 v[4:5], v[8:9], v[2:3]
	v_fma_f64 v[54:55], v[6:7], v[0:1], v[4:5]
	v_mul_f64 v[0:1], v[8:9], v[0:1]
	v_fma_f64 v[58:59], v[6:7], v[2:3], -v[0:1]
	ds_read_b128 v[0:3], v52 offset:28080
	s_clause 0x3
	buffer_load_dword v6, off, s[36:39], 0 offset:1604
	buffer_load_dword v7, off, s[36:39], 0 offset:1608
	buffer_load_dword v8, off, s[36:39], 0 offset:1612
	buffer_load_dword v9, off, s[36:39], 0 offset:1616
	;; [unrolled: 11-line block ×14, first 2 shown]
	s_waitcnt vmcnt(0) lgkmcnt(0)
	v_mul_f64 v[0:1], v[80:81], v[70:71]
	v_mul_f64 v[2:3], v[80:81], v[68:69]
	v_fma_f64 v[0:1], v[78:79], v[68:69], v[0:1]
	v_fma_f64 v[2:3], v[78:79], v[70:71], -v[2:3]
	ds_read_b128 v[68:71], v52 offset:62640
	s_clause 0x3
	buffer_load_dword v78, off, s[36:39], 0 offset:1492
	buffer_load_dword v79, off, s[36:39], 0 offset:1496
	buffer_load_dword v80, off, s[36:39], 0 offset:1500
	buffer_load_dword v81, off, s[36:39], 0 offset:1504
	s_waitcnt vmcnt(0) lgkmcnt(0)
	v_mul_f64 v[20:21], v[80:81], v[70:71]
	v_mul_f64 v[28:29], v[80:81], v[68:69]
	v_add_f64 v[80:81], v[72:73], v[76:77]
	v_fma_f64 v[20:21], v[78:79], v[68:69], v[20:21]
	v_fma_f64 v[28:29], v[78:79], v[70:71], -v[28:29]
	v_add_f64 v[78:79], v[64:65], v[74:75]
	ds_read_b128 v[68:71], v52
	s_waitcnt lgkmcnt(0)
	v_fma_f64 v[80:81], v[80:81], -0.5, v[70:71]
	v_fma_f64 v[78:79], v[78:79], -0.5, v[68:69]
	v_add_f64 v[70:71], v[70:71], v[72:73]
	v_add_f64 v[68:69], v[68:69], v[64:65]
	v_add_f64 v[64:65], v[64:65], -v[74:75]
	v_fma_f64 v[72:73], v[82:83], s[6:7], v[78:79]
	v_add_f64 v[70:71], v[70:71], v[76:77]
	v_add_f64 v[68:69], v[68:69], v[74:75]
	v_fma_f64 v[76:77], v[82:83], s[8:9], v[78:79]
	v_fma_f64 v[74:75], v[64:65], s[8:9], v[80:81]
	;; [unrolled: 1-line block ×3, first 2 shown]
	ds_read_b128 v[80:83], v52 offset:2160
	v_add_f64 v[64:65], v[84:85], v[88:89]
	s_waitcnt lgkmcnt(0)
	v_fma_f64 v[92:93], v[92:93], -0.5, v[82:83]
	v_add_f64 v[82:83], v[82:83], v[86:87]
	v_add_f64 v[86:87], v[86:87], -v[90:91]
	v_fma_f64 v[64:65], v[64:65], -0.5, v[80:81]
	v_add_f64 v[80:81], v[80:81], v[84:85]
	v_add_f64 v[82:83], v[82:83], v[90:91]
	v_add_f64 v[90:91], v[84:85], -v[88:89]
	v_fma_f64 v[84:85], v[86:87], s[6:7], v[64:65]
	v_add_f64 v[80:81], v[80:81], v[88:89]
	v_fma_f64 v[88:89], v[86:87], s[8:9], v[64:65]
	v_add_f64 v[64:65], v[48:49], v[54:55]
	v_fma_f64 v[86:87], v[90:91], s[8:9], v[92:93]
	v_fma_f64 v[90:91], v[90:91], s[6:7], v[92:93]
	ds_read_b128 v[92:95], v52 offset:4320
	ds_read_b128 v[96:99], v52 offset:6480
	ds_read_b128 v[100:103], v52 offset:8640
	ds_read_b128 v[104:107], v52 offset:10800
	ds_read_b128 v[108:111], v52 offset:12960
	ds_read_b128 v[112:115], v52 offset:15120
	ds_read_b128 v[116:119], v52 offset:17280
	ds_read_b128 v[120:123], v52 offset:19440
	s_waitcnt lgkmcnt(0)
	s_barrier
	buffer_gl0_inv
	ds_write_b128 v52, v[68:71]
	ds_write_b128 v52, v[72:75] offset:2400
	ds_write_b128 v52, v[76:79] offset:4800
	buffer_load_dword v53, off, s[36:39], 0 offset:1424 ; 4-byte Folded Reload
	v_add_f64 v[72:73], v[66:67], -v[58:59]
	s_waitcnt vmcnt(0)
	ds_write_b128 v53, v[80:83]
	ds_write_b128 v53, v[84:87] offset:2400
	ds_write_b128 v53, v[88:91] offset:4800
	v_fma_f64 v[70:71], v[64:65], -0.5, v[92:93]
	v_add_f64 v[64:65], v[66:67], v[58:59]
	v_add_f64 v[68:69], v[92:93], v[48:49]
	v_add_f64 v[48:49], v[48:49], -v[54:55]
	v_fma_f64 v[74:75], v[64:65], -0.5, v[94:95]
	v_add_f64 v[64:65], v[94:95], v[66:67]
	v_add_f64 v[66:67], v[64:65], v[58:59]
	;; [unrolled: 1-line block ×3, first 2 shown]
	v_fma_f64 v[68:69], v[72:73], s[6:7], v[70:71]
	v_fma_f64 v[72:73], v[72:73], s[8:9], v[70:71]
	;; [unrolled: 1-line block ×4, first 2 shown]
	buffer_load_dword v48, off, s[36:39], 0 offset:1420 ; 4-byte Folded Reload
	v_add_f64 v[53:54], v[42:43], v[62:63]
	s_waitcnt vmcnt(0)
	ds_write_b128 v48, v[64:67]
	ds_write_b128 v48, v[68:71] offset:2400
	ds_write_b128 v48, v[72:75] offset:4800
	v_add_f64 v[48:49], v[34:35], v[60:61]
	v_fma_f64 v[53:54], v[53:54], -0.5, v[98:99]
	v_add_f64 v[58:59], v[98:99], v[42:43]
	v_add_f64 v[66:67], v[96:97], v[34:35]
	v_add_f64 v[34:35], v[34:35], -v[60:61]
	v_add_f64 v[42:43], v[42:43], -v[62:63]
	v_fma_f64 v[48:49], v[48:49], -0.5, v[96:97]
	v_add_f64 v[64:65], v[58:59], v[62:63]
	v_add_f64 v[62:63], v[66:67], v[60:61]
	v_fma_f64 v[60:61], v[34:35], s[8:9], v[53:54]
	v_fma_f64 v[68:69], v[34:35], s[6:7], v[53:54]
	buffer_load_dword v34, off, s[36:39], 0 offset:1416 ; 4-byte Folded Reload
	v_add_f64 v[53:54], v[100:101], v[32:33]
	v_fma_f64 v[58:59], v[42:43], s[6:7], v[48:49]
	v_fma_f64 v[66:67], v[42:43], s[8:9], v[48:49]
	s_waitcnt vmcnt(0)
	ds_write_b128 v34, v[62:65]
	ds_write_b128 v34, v[58:61] offset:2400
	ds_write_b128 v34, v[66:69] offset:4800
	v_add_f64 v[34:35], v[32:33], v[40:41]
	v_add_f64 v[42:43], v[38:39], v[46:47]
	;; [unrolled: 1-line block ×3, first 2 shown]
	v_add_f64 v[38:39], v[38:39], -v[46:47]
	v_fma_f64 v[34:35], v[34:35], -0.5, v[100:101]
	v_fma_f64 v[42:43], v[42:43], -0.5, v[102:103]
	v_add_f64 v[48:49], v[48:49], v[46:47]
	v_add_f64 v[46:47], v[53:54], v[40:41]
	v_add_f64 v[40:41], v[32:33], -v[40:41]
	v_fma_f64 v[32:33], v[38:39], s[6:7], v[34:35]
	v_fma_f64 v[38:39], v[38:39], s[8:9], v[34:35]
	;; [unrolled: 1-line block ×4, first 2 shown]
	buffer_load_dword v42, off, s[36:39], 0 offset:1412 ; 4-byte Folded Reload
	s_waitcnt vmcnt(0)
	ds_write_b128 v42, v[46:49]
	ds_write_b128 v42, v[32:35] offset:2400
	ds_write_b128 v42, v[38:41] offset:4800
	v_add_f64 v[32:33], v[18:19], v[50:51]
	v_add_f64 v[38:39], v[104:105], v[18:19]
	v_add_f64 v[18:19], v[18:19], -v[50:51]
	v_fma_f64 v[40:41], v[32:33], -0.5, v[104:105]
	v_add_f64 v[32:33], v[26:27], v[56:57]
	v_fma_f64 v[42:43], v[32:33], -0.5, v[106:107]
	v_add_f64 v[32:33], v[106:107], v[26:27]
	v_add_f64 v[26:27], v[26:27], -v[56:57]
	v_fma_f64 v[48:49], v[18:19], s[6:7], v[42:43]
	v_add_f64 v[34:35], v[32:33], v[56:57]
	v_add_f64 v[32:33], v[38:39], v[50:51]
	v_fma_f64 v[38:39], v[26:27], s[6:7], v[40:41]
	v_fma_f64 v[46:47], v[26:27], s[8:9], v[40:41]
	;; [unrolled: 1-line block ×3, first 2 shown]
	buffer_load_dword v18, off, s[36:39], 0 offset:1408 ; 4-byte Folded Reload
	s_waitcnt vmcnt(0)
	ds_write_b128 v18, v[32:35]
	ds_write_b128 v18, v[38:41] offset:2400
	ds_write_b128 v18, v[46:49] offset:4800
	v_add_f64 v[18:19], v[16:17], v[24:25]
	v_add_f64 v[26:27], v[22:23], v[30:31]
	;; [unrolled: 1-line block ×4, first 2 shown]
	v_add_f64 v[22:23], v[22:23], -v[30:31]
	v_fma_f64 v[18:19], v[18:19], -0.5, v[108:109]
	v_fma_f64 v[26:27], v[26:27], -0.5, v[110:111]
	v_add_f64 v[32:33], v[32:33], v[30:31]
	v_add_f64 v[30:31], v[34:35], v[24:25]
	v_add_f64 v[24:25], v[16:17], -v[24:25]
	v_fma_f64 v[16:17], v[22:23], s[6:7], v[18:19]
	v_fma_f64 v[22:23], v[22:23], s[8:9], v[18:19]
	;; [unrolled: 1-line block ×4, first 2 shown]
	buffer_load_dword v26, off, s[36:39], 0 offset:1404 ; 4-byte Folded Reload
	s_waitcnt vmcnt(0)
	ds_write_b128 v26, v[30:33]
	ds_write_b128 v26, v[16:19] offset:2400
	ds_write_b128 v26, v[22:25] offset:4800
	v_add_f64 v[16:17], v[6:7], v[36:37]
	v_add_f64 v[22:23], v[112:113], v[6:7]
	v_add_f64 v[6:7], v[6:7], -v[36:37]
	v_fma_f64 v[24:25], v[16:17], -0.5, v[112:113]
	v_add_f64 v[16:17], v[12:13], v[44:45]
	v_fma_f64 v[26:27], v[16:17], -0.5, v[114:115]
	v_add_f64 v[16:17], v[114:115], v[12:13]
	v_add_f64 v[12:13], v[12:13], -v[44:45]
	v_fma_f64 v[32:33], v[6:7], s[6:7], v[26:27]
	v_add_f64 v[18:19], v[16:17], v[44:45]
	v_add_f64 v[16:17], v[22:23], v[36:37]
	v_fma_f64 v[22:23], v[12:13], s[6:7], v[24:25]
	v_fma_f64 v[30:31], v[12:13], s[8:9], v[24:25]
	v_fma_f64 v[24:25], v[6:7], s[8:9], v[26:27]
	buffer_load_dword v6, off, s[36:39], 0 offset:1400 ; 4-byte Folded Reload
	s_waitcnt vmcnt(0)
	ds_write_b128 v6, v[16:19]
	ds_write_b128 v6, v[22:25] offset:2400
	ds_write_b128 v6, v[30:33] offset:4800
	v_add_f64 v[6:7], v[4:5], v[10:11]
	v_add_f64 v[18:19], v[116:117], v[4:5]
	v_add_f64 v[22:23], v[8:9], -v[14:15]
	v_add_f64 v[4:5], v[4:5], -v[10:11]
	v_fma_f64 v[12:13], v[6:7], -0.5, v[116:117]
	v_add_f64 v[6:7], v[8:9], v[14:15]
	v_fma_f64 v[16:17], v[6:7], -0.5, v[118:119]
	v_add_f64 v[6:7], v[118:119], v[8:9]
	v_add_f64 v[8:9], v[6:7], v[14:15]
	;; [unrolled: 1-line block ×3, first 2 shown]
	v_fma_f64 v[10:11], v[22:23], s[6:7], v[12:13]
	v_fma_f64 v[14:15], v[22:23], s[8:9], v[12:13]
	;; [unrolled: 1-line block ×4, first 2 shown]
	buffer_load_dword v4, off, s[36:39], 0 offset:1396 ; 4-byte Folded Reload
	s_waitcnt vmcnt(0)
	ds_write_b128 v4, v[6:9]
	ds_write_b128 v4, v[10:13] offset:2400
	ds_write_b128 v4, v[14:17] offset:4800
	v_add_f64 v[4:5], v[0:1], v[20:21]
	v_add_f64 v[6:7], v[120:121], v[0:1]
	v_add_f64 v[10:11], v[2:3], -v[28:29]
	v_add_f64 v[0:1], v[0:1], -v[20:21]
	v_fma_f64 v[8:9], v[4:5], -0.5, v[120:121]
	v_add_f64 v[4:5], v[2:3], v[28:29]
	v_fma_f64 v[12:13], v[4:5], -0.5, v[122:123]
	v_add_f64 v[4:5], v[122:123], v[2:3]
	v_add_f64 v[2:3], v[6:7], v[20:21]
	v_fma_f64 v[6:7], v[10:11], s[6:7], v[8:9]
	v_fma_f64 v[10:11], v[10:11], s[8:9], v[8:9]
	;; [unrolled: 1-line block ×4, first 2 shown]
	buffer_load_dword v0, off, s[36:39], 0 offset:1392 ; 4-byte Folded Reload
	v_add_f64 v[4:5], v[4:5], v[28:29]
	s_waitcnt vmcnt(0)
	ds_write_b128 v0, v[2:5] offset:57600
	ds_write_b128 v0, v[6:9] offset:60000
	;; [unrolled: 1-line block ×3, first 2 shown]
	s_waitcnt lgkmcnt(0)
	s_barrier
	buffer_gl0_inv
	ds_read_b128 v[0:3], v52 offset:21600
	s_clause 0x3
	buffer_load_dword v6, off, s[36:39], 0 offset:1360
	buffer_load_dword v7, off, s[36:39], 0 offset:1364
	;; [unrolled: 1-line block ×4, first 2 shown]
	s_waitcnt vmcnt(0) lgkmcnt(0)
	v_mul_f64 v[4:5], v[8:9], v[2:3]
	v_fma_f64 v[48:49], v[6:7], v[0:1], v[4:5]
	v_mul_f64 v[0:1], v[8:9], v[0:1]
	v_fma_f64 v[50:51], v[6:7], v[2:3], -v[0:1]
	ds_read_b128 v[0:3], v52 offset:43200
	s_clause 0x3
	buffer_load_dword v6, off, s[36:39], 0 offset:1376
	buffer_load_dword v7, off, s[36:39], 0 offset:1380
	buffer_load_dword v8, off, s[36:39], 0 offset:1384
	buffer_load_dword v9, off, s[36:39], 0 offset:1388
	s_waitcnt vmcnt(0) lgkmcnt(0)
	v_mul_f64 v[4:5], v[8:9], v[2:3]
	v_fma_f64 v[57:58], v[6:7], v[0:1], v[4:5]
	v_mul_f64 v[0:1], v[8:9], v[0:1]
	v_add_f64 v[61:62], v[48:49], v[57:58]
	v_fma_f64 v[59:60], v[6:7], v[2:3], -v[0:1]
	ds_read_b128 v[0:3], v52 offset:23760
	s_clause 0x3
	buffer_load_dword v6, off, s[36:39], 0 offset:1344
	buffer_load_dword v7, off, s[36:39], 0 offset:1348
	buffer_load_dword v8, off, s[36:39], 0 offset:1352
	buffer_load_dword v9, off, s[36:39], 0 offset:1356
	v_add_f64 v[63:64], v[50:51], v[59:60]
	s_waitcnt vmcnt(0) lgkmcnt(0)
	v_mul_f64 v[4:5], v[8:9], v[2:3]
	v_fma_f64 v[65:66], v[6:7], v[0:1], v[4:5]
	v_mul_f64 v[0:1], v[8:9], v[0:1]
	v_fma_f64 v[67:68], v[6:7], v[2:3], -v[0:1]
	ds_read_b128 v[0:3], v52 offset:45360
	s_clause 0x3
	buffer_load_dword v6, off, s[36:39], 0 offset:1296
	buffer_load_dword v7, off, s[36:39], 0 offset:1300
	buffer_load_dword v8, off, s[36:39], 0 offset:1304
	buffer_load_dword v9, off, s[36:39], 0 offset:1308
	s_waitcnt vmcnt(0) lgkmcnt(0)
	v_mul_f64 v[4:5], v[8:9], v[2:3]
	v_fma_f64 v[69:70], v[6:7], v[0:1], v[4:5]
	v_mul_f64 v[0:1], v[8:9], v[0:1]
	v_add_f64 v[73:74], v[65:66], v[69:70]
	v_fma_f64 v[71:72], v[6:7], v[2:3], -v[0:1]
	ds_read_b128 v[0:3], v52 offset:25920
	s_clause 0x3
	buffer_load_dword v6, off, s[36:39], 0 offset:1312
	buffer_load_dword v7, off, s[36:39], 0 offset:1316
	buffer_load_dword v8, off, s[36:39], 0 offset:1320
	buffer_load_dword v9, off, s[36:39], 0 offset:1324
	v_add_f64 v[75:76], v[67:68], v[71:72]
	;; [unrolled: 24-line block ×4, first 2 shown]
	s_waitcnt vmcnt(0) lgkmcnt(0)
	v_mul_f64 v[4:5], v[8:9], v[2:3]
	v_fma_f64 v[24:25], v[6:7], v[0:1], v[4:5]
	v_mul_f64 v[0:1], v[8:9], v[0:1]
	v_fma_f64 v[26:27], v[6:7], v[2:3], -v[0:1]
	ds_read_b128 v[0:3], v52 offset:51840
	s_clause 0x3
	buffer_load_dword v6, off, s[36:39], 0 offset:1764
	buffer_load_dword v7, off, s[36:39], 0 offset:1768
	buffer_load_dword v8, off, s[36:39], 0 offset:1772
	buffer_load_dword v9, off, s[36:39], 0 offset:1776
	s_waitcnt vmcnt(0) lgkmcnt(0)
	v_mul_f64 v[4:5], v[8:9], v[2:3]
	v_fma_f64 v[28:29], v[6:7], v[0:1], v[4:5]
	v_mul_f64 v[0:1], v[8:9], v[0:1]
	v_fma_f64 v[32:33], v[6:7], v[2:3], -v[0:1]
	ds_read_b128 v[0:3], v52 offset:32400
	s_clause 0x3
	buffer_load_dword v6, off, s[36:39], 0 offset:1780
	buffer_load_dword v7, off, s[36:39], 0 offset:1784
	buffer_load_dword v8, off, s[36:39], 0 offset:1788
	buffer_load_dword v9, off, s[36:39], 0 offset:1792
	;; [unrolled: 11-line block ×4, first 2 shown]
	ds_read_b128 v[16:19], v52 offset:41040
	ds_read_b128 v[53:56], v52 offset:62640
	s_waitcnt vmcnt(0) lgkmcnt(2)
	v_mul_f64 v[4:5], v[8:9], v[2:3]
	v_fma_f64 v[36:37], v[6:7], v[0:1], v[4:5]
	v_mul_f64 v[0:1], v[8:9], v[0:1]
	v_fma_f64 v[38:39], v[6:7], v[2:3], -v[0:1]
	ds_read_b128 v[0:3], v52 offset:56160
	s_waitcnt lgkmcnt(0)
	v_mul_f64 v[4:5], v[250:251], v[2:3]
	v_fma_f64 v[40:41], v[248:249], v[0:1], v[4:5]
	v_mul_f64 v[0:1], v[250:251], v[0:1]
	v_fma_f64 v[44:45], v[248:249], v[2:3], -v[0:1]
	ds_read_b128 v[0:3], v52 offset:36720
	s_waitcnt lgkmcnt(0)
	;; [unrolled: 6-line block ×5, first 2 shown]
	v_mul_f64 v[10:11], v[234:235], v[2:3]
	v_fma_f64 v[10:11], v[232:233], v[0:1], v[10:11]
	v_mul_f64 v[0:1], v[234:235], v[0:1]
	v_fma_f64 v[12:13], v[232:233], v[2:3], -v[0:1]
	v_mul_f64 v[0:1], v[230:231], v[18:19]
	v_mul_f64 v[2:3], v[230:231], v[16:17]
	v_fma_f64 v[0:1], v[228:229], v[16:17], v[0:1]
	v_fma_f64 v[2:3], v[228:229], v[18:19], -v[2:3]
	v_mul_f64 v[16:17], v[226:227], v[55:56]
	v_mul_f64 v[18:19], v[226:227], v[53:54]
	v_fma_f64 v[16:17], v[224:225], v[53:54], v[16:17]
	v_fma_f64 v[18:19], v[224:225], v[55:56], -v[18:19]
	ds_read_b128 v[53:56], v52
	s_waitcnt lgkmcnt(0)
	v_fma_f64 v[63:64], v[63:64], -0.5, v[55:56]
	v_add_f64 v[55:56], v[55:56], v[50:51]
	v_fma_f64 v[61:62], v[61:62], -0.5, v[53:54]
	v_add_f64 v[53:54], v[53:54], v[48:49]
	v_add_f64 v[50:51], v[50:51], -v[59:60]
	v_add_f64 v[55:56], v[55:56], v[59:60]
	v_add_f64 v[59:60], v[48:49], -v[57:58]
	v_add_f64 v[53:54], v[53:54], v[57:58]
	v_fma_f64 v[48:49], v[50:51], s[6:7], v[61:62]
	v_fma_f64 v[57:58], v[50:51], s[8:9], v[61:62]
	v_fma_f64 v[50:51], v[59:60], s[8:9], v[63:64]
	v_fma_f64 v[59:60], v[59:60], s[6:7], v[63:64]
	ds_read_b128 v[61:64], v52 offset:2160
	s_waitcnt lgkmcnt(0)
	v_fma_f64 v[75:76], v[75:76], -0.5, v[63:64]
	v_add_f64 v[63:64], v[63:64], v[67:68]
	v_fma_f64 v[73:74], v[73:74], -0.5, v[61:62]
	v_add_f64 v[61:62], v[61:62], v[65:66]
	v_add_f64 v[67:68], v[67:68], -v[71:72]
	v_add_f64 v[63:64], v[63:64], v[71:72]
	v_add_f64 v[71:72], v[65:66], -v[69:70]
	v_add_f64 v[61:62], v[61:62], v[69:70]
	v_fma_f64 v[65:66], v[67:68], s[6:7], v[73:74]
	v_fma_f64 v[69:70], v[67:68], s[8:9], v[73:74]
	v_fma_f64 v[67:68], v[71:72], s[8:9], v[75:76]
	v_fma_f64 v[71:72], v[71:72], s[6:7], v[75:76]
	ds_read_b128 v[73:76], v52 offset:4320
	;; [unrolled: 14-line block ×4, first 2 shown]
	ds_read_b128 v[101:104], v52 offset:10800
	ds_read_b128 v[105:108], v52 offset:12960
	;; [unrolled: 1-line block ×5, first 2 shown]
	s_waitcnt lgkmcnt(0)
	s_barrier
	buffer_gl0_inv
	ds_write_b128 v52, v[53:56]
	ds_write_b128 v52, v[48:51] offset:7200
	ds_write_b128 v52, v[57:60] offset:14400
	;; [unrolled: 1-line block ×8, first 2 shown]
	buffer_load_dword v48, off, s[36:39], 0 offset:1844 ; 4-byte Folded Reload
	s_waitcnt vmcnt(0)
	ds_write_b128 v48, v[85:88]
	ds_write_b128 v48, v[89:92] offset:7200
	ds_write_b128 v48, v[93:96] offset:14400
	v_add_f64 v[48:49], v[24:25], v[28:29]
	v_add_f64 v[57:58], v[97:98], v[24:25]
	v_add_f64 v[61:62], v[34:35], -v[46:47]
	v_fma_f64 v[53:54], v[48:49], -0.5, v[97:98]
	v_add_f64 v[48:49], v[26:27], v[32:33]
	v_fma_f64 v[55:56], v[48:49], -0.5, v[99:100]
	v_add_f64 v[48:49], v[99:100], v[26:27]
	v_add_f64 v[26:27], v[26:27], -v[32:33]
	v_add_f64 v[50:51], v[48:49], v[32:33]
	v_add_f64 v[48:49], v[57:58], v[28:29]
	v_add_f64 v[28:29], v[24:25], -v[28:29]
	v_fma_f64 v[24:25], v[26:27], s[6:7], v[53:54]
	v_fma_f64 v[53:54], v[26:27], s[8:9], v[53:54]
	v_add_f64 v[32:33], v[101:102], v[30:31]
	v_fma_f64 v[26:27], v[28:29], s[8:9], v[55:56]
	v_fma_f64 v[55:56], v[28:29], s[6:7], v[55:56]
	v_add_f64 v[28:29], v[30:31], v[42:43]
	v_add_f64 v[32:33], v[32:33], v[42:43]
	v_add_f64 v[42:43], v[30:31], -v[42:43]
	v_fma_f64 v[57:58], v[28:29], -0.5, v[101:102]
	v_add_f64 v[28:29], v[34:35], v[46:47]
	v_fma_f64 v[59:60], v[28:29], -0.5, v[103:104]
	v_add_f64 v[28:29], v[103:104], v[34:35]
	v_fma_f64 v[30:31], v[42:43], s[8:9], v[59:60]
	v_add_f64 v[34:35], v[28:29], v[46:47]
	v_fma_f64 v[28:29], v[61:62], s[6:7], v[57:58]
	v_fma_f64 v[57:58], v[61:62], s[8:9], v[57:58]
	;; [unrolled: 1-line block ×3, first 2 shown]
	ds_write_b128 v52, v[48:51] offset:23040
	ds_write_b128 v52, v[24:27] offset:30240
	;; [unrolled: 1-line block ×6, first 2 shown]
	buffer_load_dword v24, off, s[36:39], 0 offset:1840 ; 4-byte Folded Reload
	v_add_f64 v[42:43], v[36:37], v[40:41]
	v_add_f64 v[61:62], v[105:106], v[36:37]
	;; [unrolled: 1-line block ×3, first 2 shown]
	v_fma_f64 v[46:47], v[42:43], -0.5, v[105:106]
	v_add_f64 v[42:43], v[38:39], v[44:45]
	v_fma_f64 v[63:64], v[42:43], -0.5, v[107:108]
	v_add_f64 v[42:43], v[107:108], v[38:39]
	v_add_f64 v[38:39], v[38:39], -v[44:45]
	v_add_f64 v[44:45], v[42:43], v[44:45]
	v_add_f64 v[42:43], v[61:62], v[40:41]
	v_add_f64 v[40:41], v[36:37], -v[40:41]
	v_fma_f64 v[36:37], v[38:39], s[6:7], v[46:47]
	v_fma_f64 v[61:62], v[38:39], s[8:9], v[46:47]
	;; [unrolled: 1-line block ×4, first 2 shown]
	s_waitcnt vmcnt(0)
	ds_write_b128 v24, v[42:45]
	ds_write_b128 v24, v[36:39] offset:7200
	ds_write_b128 v24, v[61:64] offset:14400
	v_add_f64 v[24:25], v[6:7], v[20:21]
	v_add_f64 v[6:7], v[6:7], -v[20:21]
	v_fma_f64 v[28:29], v[24:25], -0.5, v[109:110]
	v_add_f64 v[24:25], v[14:15], v[22:23]
	v_fma_f64 v[32:33], v[24:25], -0.5, v[111:112]
	v_add_f64 v[24:25], v[111:112], v[14:15]
	v_add_f64 v[14:15], v[14:15], -v[22:23]
	v_add_f64 v[24:25], v[24:25], v[22:23]
	v_add_f64 v[22:23], v[26:27], v[20:21]
	v_fma_f64 v[26:27], v[14:15], s[6:7], v[28:29]
	v_fma_f64 v[30:31], v[14:15], s[8:9], v[28:29]
	;; [unrolled: 1-line block ×4, first 2 shown]
	buffer_load_dword v6, off, s[36:39], 0 offset:1836 ; 4-byte Folded Reload
	s_waitcnt vmcnt(0)
	ds_write_b128 v6, v[22:25] offset:43200
	ds_write_b128 v6, v[26:29] offset:50400
	;; [unrolled: 1-line block ×3, first 2 shown]
	v_add_f64 v[6:7], v[4:5], v[10:11]
	v_add_f64 v[20:21], v[113:114], v[4:5]
	v_add_f64 v[4:5], v[4:5], -v[10:11]
	v_add_f64 v[24:25], v[8:9], -v[12:13]
	v_fma_f64 v[14:15], v[6:7], -0.5, v[113:114]
	v_add_f64 v[6:7], v[8:9], v[12:13]
	v_fma_f64 v[22:23], v[6:7], -0.5, v[115:116]
	v_add_f64 v[6:7], v[115:116], v[8:9]
	v_add_f64 v[8:9], v[6:7], v[12:13]
	v_fma_f64 v[12:13], v[4:5], s[8:9], v[22:23]
	v_fma_f64 v[22:23], v[4:5], s[6:7], v[22:23]
	buffer_load_dword v4, off, s[36:39], 0 offset:1832 ; 4-byte Folded Reload
	v_add_f64 v[6:7], v[20:21], v[10:11]
	v_fma_f64 v[10:11], v[24:25], s[6:7], v[14:15]
	v_fma_f64 v[20:21], v[24:25], s[8:9], v[14:15]
	s_waitcnt vmcnt(0)
	ds_write_b128 v4, v[6:9] offset:43200
	ds_write_b128 v4, v[10:13] offset:50400
	;; [unrolled: 1-line block ×3, first 2 shown]
	v_add_f64 v[4:5], v[0:1], v[16:17]
	v_add_f64 v[6:7], v[117:118], v[0:1]
	v_add_f64 v[10:11], v[2:3], -v[18:19]
	v_add_f64 v[0:1], v[0:1], -v[16:17]
	v_fma_f64 v[8:9], v[4:5], -0.5, v[117:118]
	v_add_f64 v[4:5], v[2:3], v[18:19]
	v_fma_f64 v[12:13], v[4:5], -0.5, v[119:120]
	v_add_f64 v[4:5], v[119:120], v[2:3]
	v_add_f64 v[2:3], v[6:7], v[16:17]
	v_fma_f64 v[6:7], v[10:11], s[6:7], v[8:9]
	v_fma_f64 v[10:11], v[10:11], s[8:9], v[8:9]
	;; [unrolled: 1-line block ×4, first 2 shown]
	buffer_load_dword v0, off, s[36:39], 0 offset:1828 ; 4-byte Folded Reload
	v_add_f64 v[4:5], v[4:5], v[18:19]
	s_waitcnt vmcnt(0)
	ds_write_b128 v0, v[2:5] offset:43200
	ds_write_b128 v0, v[6:9] offset:50400
	ds_write_b128 v0, v[10:13] offset:57600
	s_waitcnt lgkmcnt(0)
	s_barrier
	buffer_gl0_inv
	ds_read_b128 v[2:5], v52 offset:21600
	ds_read_b128 v[110:113], v52 offset:12960
	;; [unrolled: 1-line block ×5, first 2 shown]
	s_waitcnt lgkmcnt(4)
	v_mul_f64 v[0:1], v[132:133], v[4:5]
	v_fma_f64 v[0:1], v[130:131], v[2:3], v[0:1]
	v_mul_f64 v[2:3], v[132:133], v[2:3]
	v_fma_f64 v[2:3], v[130:131], v[4:5], -v[2:3]
	ds_read_b128 v[4:7], v52 offset:43200
	s_waitcnt lgkmcnt(0)
	v_mul_f64 v[8:9], v[218:219], v[6:7]
	v_fma_f64 v[12:13], v[216:217], v[4:5], v[8:9]
	v_mul_f64 v[4:5], v[218:219], v[4:5]
	v_fma_f64 v[8:9], v[216:217], v[6:7], -v[4:5]
	ds_read_b128 v[4:7], v52 offset:23760
	;; [unrolled: 6-line block ×6, first 2 shown]
	s_waitcnt lgkmcnt(0)
	v_mul_f64 v[10:11], v[206:207], v[6:7]
	v_add_f64 v[96:97], v[82:83], v[86:87]
	v_fma_f64 v[72:73], v[204:205], v[4:5], v[10:11]
	v_mul_f64 v[4:5], v[206:207], v[4:5]
	v_fma_f64 v[74:75], v[204:205], v[6:7], -v[4:5]
	ds_read_b128 v[4:7], v52 offset:49680
	s_waitcnt lgkmcnt(0)
	v_mul_f64 v[10:11], v[198:199], v[6:7]
	v_fma_f64 v[76:77], v[196:197], v[4:5], v[10:11]
	v_mul_f64 v[4:5], v[198:199], v[4:5]
	v_add_f64 v[98:99], v[72:73], v[76:77]
	v_fma_f64 v[78:79], v[196:197], v[6:7], -v[4:5]
	ds_read_b128 v[4:7], v52 offset:30240
	s_waitcnt lgkmcnt(0)
	v_mul_f64 v[10:11], v[194:195], v[6:7]
	v_add_f64 v[100:101], v[74:75], v[78:79]
	v_fma_f64 v[64:65], v[192:193], v[4:5], v[10:11]
	v_mul_f64 v[4:5], v[194:195], v[4:5]
	v_fma_f64 v[66:67], v[192:193], v[6:7], -v[4:5]
	ds_read_b128 v[4:7], v52 offset:51840
	s_waitcnt lgkmcnt(0)
	v_mul_f64 v[10:11], v[174:175], v[6:7]
	v_fma_f64 v[68:69], v[172:173], v[4:5], v[10:11]
	v_mul_f64 v[4:5], v[174:175], v[4:5]
	v_add_f64 v[102:103], v[64:65], v[68:69]
	v_fma_f64 v[70:71], v[172:173], v[6:7], -v[4:5]
	ds_read_b128 v[4:7], v52 offset:32400
	s_waitcnt lgkmcnt(0)
	v_mul_f64 v[10:11], v[190:191], v[6:7]
	v_add_f64 v[104:105], v[66:67], v[70:71]
	v_fma_f64 v[48:49], v[188:189], v[4:5], v[10:11]
	v_mul_f64 v[4:5], v[190:191], v[4:5]
	v_fma_f64 v[50:51], v[188:189], v[6:7], -v[4:5]
	ds_read_b128 v[4:7], v52 offset:54000
	s_waitcnt lgkmcnt(0)
	v_mul_f64 v[10:11], v[170:171], v[6:7]
	v_fma_f64 v[58:59], v[168:169], v[4:5], v[10:11]
	v_mul_f64 v[4:5], v[170:171], v[4:5]
	v_add_f64 v[106:107], v[48:49], v[58:59]
	v_fma_f64 v[62:63], v[168:169], v[6:7], -v[4:5]
	ds_read_b128 v[4:7], v52 offset:34560
	s_waitcnt lgkmcnt(0)
	v_mul_f64 v[10:11], v[166:167], v[6:7]
	v_add_f64 v[108:109], v[50:51], v[62:63]
	v_fma_f64 v[36:37], v[164:165], v[4:5], v[10:11]
	v_mul_f64 v[4:5], v[166:167], v[4:5]
	v_fma_f64 v[44:45], v[164:165], v[6:7], -v[4:5]
	ds_read_b128 v[4:7], v52 offset:56160
	s_waitcnt lgkmcnt(0)
	v_mul_f64 v[10:11], v[154:155], v[6:7]
	v_fma_f64 v[56:57], v[152:153], v[4:5], v[10:11]
	v_mul_f64 v[4:5], v[154:155], v[4:5]
	v_fma_f64 v[60:61], v[152:153], v[6:7], -v[4:5]
	ds_read_b128 v[4:7], v52 offset:36720
	s_waitcnt lgkmcnt(0)
	v_mul_f64 v[10:11], v[158:159], v[6:7]
	;; [unrolled: 6-line block ×7, first 2 shown]
	v_fma_f64 v[34:35], v[148:149], v[4:5], v[10:11]
	v_mul_f64 v[4:5], v[150:151], v[4:5]
	v_add_f64 v[10:11], v[0:1], v[12:13]
	v_fma_f64 v[42:43], v[148:149], v[6:7], -v[4:5]
	ds_read_b128 v[4:7], v52
	s_waitcnt lgkmcnt(0)
	v_fma_f64 v[14:15], v[10:11], -0.5, v[4:5]
	v_add_f64 v[10:11], v[2:3], v[8:9]
	v_add_f64 v[4:5], v[4:5], v[0:1]
	v_fma_f64 v[22:23], v[10:11], -0.5, v[6:7]
	v_add_f64 v[6:7], v[6:7], v[2:3]
	v_add_f64 v[2:3], v[2:3], -v[8:9]
	v_add_f64 v[10:11], v[6:7], v[8:9]
	v_add_f64 v[8:9], v[4:5], v[12:13]
	v_add_f64 v[12:13], v[0:1], -v[12:13]
	v_fma_f64 v[4:5], v[2:3], s[6:7], v[14:15]
	v_fma_f64 v[0:1], v[2:3], s[8:9], v[14:15]
	;; [unrolled: 1-line block ×4, first 2 shown]
	v_add_f64 v[22:23], v[16:17], v[90:91]
	ds_read_b128 v[12:15], v52 offset:2160
	s_waitcnt lgkmcnt(0)
	v_fma_f64 v[92:93], v[22:23], -0.5, v[12:13]
	v_add_f64 v[22:23], v[18:19], v[20:21]
	v_add_f64 v[12:13], v[12:13], v[16:17]
	v_fma_f64 v[94:95], v[22:23], -0.5, v[14:15]
	v_add_f64 v[14:15], v[14:15], v[18:19]
	v_add_f64 v[18:19], v[18:19], -v[20:21]
	v_add_f64 v[22:23], v[14:15], v[20:21]
	v_add_f64 v[14:15], v[16:17], -v[90:91]
	v_add_f64 v[20:21], v[12:13], v[90:91]
	v_fma_f64 v[16:17], v[18:19], s[6:7], v[92:93]
	v_fma_f64 v[12:13], v[18:19], s[8:9], v[92:93]
	ds_read_b128 v[90:93], v52 offset:4320
	v_fma_f64 v[18:19], v[14:15], s[8:9], v[94:95]
	v_fma_f64 v[14:15], v[14:15], s[6:7], v[94:95]
	v_add_f64 v[94:95], v[80:81], v[84:85]
	s_waitcnt lgkmcnt(0)
	v_fma_f64 v[96:97], v[96:97], -0.5, v[92:93]
	v_add_f64 v[92:93], v[92:93], v[82:83]
	v_add_f64 v[82:83], v[82:83], -v[86:87]
	v_fma_f64 v[94:95], v[94:95], -0.5, v[90:91]
	v_add_f64 v[90:91], v[90:91], v[80:81]
	v_add_f64 v[92:93], v[92:93], v[86:87]
	v_add_f64 v[86:87], v[80:81], -v[84:85]
	v_fma_f64 v[80:81], v[82:83], s[6:7], v[94:95]
	v_add_f64 v[90:91], v[90:91], v[84:85]
	v_fma_f64 v[84:85], v[82:83], s[8:9], v[94:95]
	v_fma_f64 v[82:83], v[86:87], s[8:9], v[96:97]
	v_fma_f64 v[86:87], v[86:87], s[6:7], v[96:97]
	ds_read_b128 v[94:97], v52 offset:6480
	s_waitcnt lgkmcnt(0)
	v_fma_f64 v[100:101], v[100:101], -0.5, v[96:97]
	v_add_f64 v[96:97], v[96:97], v[74:75]
	v_fma_f64 v[98:99], v[98:99], -0.5, v[94:95]
	v_add_f64 v[94:95], v[94:95], v[72:73]
	v_add_f64 v[74:75], v[74:75], -v[78:79]
	v_add_f64 v[96:97], v[96:97], v[78:79]
	v_add_f64 v[78:79], v[72:73], -v[76:77]
	v_add_f64 v[94:95], v[94:95], v[76:77]
	v_fma_f64 v[72:73], v[74:75], s[6:7], v[98:99]
	v_fma_f64 v[76:77], v[74:75], s[8:9], v[98:99]
	v_fma_f64 v[74:75], v[78:79], s[8:9], v[100:101]
	v_fma_f64 v[78:79], v[78:79], s[6:7], v[100:101]
	ds_read_b128 v[98:101], v52 offset:8640
	s_waitcnt lgkmcnt(0)
	v_fma_f64 v[104:105], v[104:105], -0.5, v[100:101]
	v_add_f64 v[100:101], v[100:101], v[66:67]
	v_fma_f64 v[102:103], v[102:103], -0.5, v[98:99]
	v_add_f64 v[98:99], v[98:99], v[64:65]
	v_add_f64 v[66:67], v[66:67], -v[70:71]
	v_add_f64 v[100:101], v[100:101], v[70:71]
	v_add_f64 v[70:71], v[64:65], -v[68:69]
	v_add_f64 v[98:99], v[98:99], v[68:69]
	v_fma_f64 v[64:65], v[66:67], s[6:7], v[102:103]
	;; [unrolled: 14-line block ×3, first 2 shown]
	v_fma_f64 v[106:107], v[50:51], s[8:9], v[106:107]
	v_fma_f64 v[50:51], v[58:59], s[8:9], v[108:109]
	;; [unrolled: 1-line block ×3, first 2 shown]
	v_add_f64 v[58:59], v[36:37], v[56:57]
	v_fma_f64 v[62:63], v[58:59], -0.5, v[110:111]
	v_add_f64 v[58:59], v[44:45], v[60:61]
	v_add_f64 v[110:111], v[110:111], v[36:37]
	v_add_f64 v[36:37], v[36:37], -v[56:57]
	v_fma_f64 v[116:117], v[58:59], -0.5, v[112:113]
	v_add_f64 v[58:59], v[112:113], v[44:45]
	v_add_f64 v[44:45], v[44:45], -v[60:61]
	v_fma_f64 v[112:113], v[36:37], s[8:9], v[116:117]
	v_fma_f64 v[116:117], v[36:37], s[6:7], v[116:117]
	v_add_f64 v[36:37], v[26:27], v[32:33]
	v_add_f64 v[60:61], v[58:59], v[60:61]
	;; [unrolled: 1-line block ×3, first 2 shown]
	v_fma_f64 v[110:111], v[44:45], s[6:7], v[62:63]
	v_fma_f64 v[114:115], v[44:45], s[8:9], v[62:63]
	v_add_f64 v[62:63], v[118:119], v[26:27]
	v_add_f64 v[26:27], v[26:27], -v[32:33]
	v_fma_f64 v[44:45], v[36:37], -0.5, v[118:119]
	v_add_f64 v[36:37], v[30:31], v[38:39]
	v_add_f64 v[118:119], v[30:31], -v[38:39]
	v_fma_f64 v[56:57], v[36:37], -0.5, v[120:121]
	v_add_f64 v[36:37], v[120:121], v[30:31]
	v_fma_f64 v[30:31], v[118:119], s[6:7], v[44:45]
	v_fma_f64 v[118:119], v[118:119], s[8:9], v[44:45]
	v_add_f64 v[44:45], v[46:47], v[54:55]
	v_fma_f64 v[120:121], v[26:27], s[6:7], v[56:57]
	v_add_f64 v[38:39], v[36:37], v[38:39]
	v_add_f64 v[36:37], v[62:63], v[32:33]
	v_fma_f64 v[32:33], v[26:27], s[8:9], v[56:57]
	v_add_f64 v[26:27], v[40:41], v[88:89]
	v_fma_f64 v[62:63], v[44:45], -0.5, v[124:125]
	v_add_f64 v[44:45], v[124:125], v[46:47]
	v_add_f64 v[56:57], v[122:123], v[40:41]
	v_add_f64 v[40:41], v[40:41], -v[88:89]
	v_fma_f64 v[26:27], v[26:27], -0.5, v[122:123]
	v_add_f64 v[122:123], v[46:47], -v[54:55]
	v_add_f64 v[46:47], v[44:45], v[54:55]
	v_add_f64 v[44:45], v[56:57], v[88:89]
	v_fma_f64 v[55:56], v[40:41], s[8:9], v[62:63]
	v_fma_f64 v[124:125], v[40:41], s[6:7], v[62:63]
	v_add_f64 v[40:41], v[126:127], v[24:25]
	v_fma_f64 v[53:54], v[122:123], s[6:7], v[26:27]
	v_fma_f64 v[122:123], v[122:123], s[8:9], v[26:27]
	v_add_f64 v[26:27], v[24:25], v[34:35]
	v_add_f64 v[24:25], v[24:25], -v[34:35]
	v_fma_f64 v[62:63], v[26:27], -0.5, v[126:127]
	v_add_f64 v[26:27], v[28:29], v[42:43]
	v_add_f64 v[126:127], v[28:29], -v[42:43]
	v_fma_f64 v[88:89], v[26:27], -0.5, v[128:129]
	v_add_f64 v[26:27], v[128:129], v[28:29]
	v_fma_f64 v[128:129], v[24:25], s[6:7], v[88:89]
	v_add_f64 v[28:29], v[26:27], v[42:43]
	v_add_f64 v[26:27], v[40:41], v[34:35]
	v_fma_f64 v[40:41], v[126:127], s[6:7], v[62:63]
	v_fma_f64 v[126:127], v[126:127], s[8:9], v[62:63]
	;; [unrolled: 1-line block ×3, first 2 shown]
	ds_write_b128 v52, v[8:11]
	ds_write_b128 v52, v[4:7] offset:21600
	ds_write_b128 v52, v[0:3] offset:43200
	;; [unrolled: 1-line block ×29, first 2 shown]
	s_waitcnt lgkmcnt(0)
	s_barrier
	buffer_gl0_inv
	ds_read_b128 v[2:5], v52
	s_clause 0x3
	buffer_load_dword v6, off, s[36:39], 0 offset:472
	buffer_load_dword v7, off, s[36:39], 0 offset:476
	buffer_load_dword v8, off, s[36:39], 0 offset:480
	buffer_load_dword v9, off, s[36:39], 0 offset:484
	s_waitcnt vmcnt(0) lgkmcnt(0)
	v_mul_f64 v[0:1], v[8:9], v[4:5]
	v_fma_f64 v[0:1], v[6:7], v[2:3], v[0:1]
	v_mul_f64 v[2:3], v[8:9], v[2:3]
	v_fma_f64 v[2:3], v[6:7], v[4:5], -v[2:3]
	ds_read_b128 v[4:7], v52 offset:6480
	s_clause 0x3
	buffer_load_dword v10, off, s[36:39], 0 offset:456
	buffer_load_dword v11, off, s[36:39], 0 offset:460
	buffer_load_dword v12, off, s[36:39], 0 offset:464
	buffer_load_dword v13, off, s[36:39], 0 offset:468
	s_waitcnt vmcnt(0) lgkmcnt(0)
	v_mul_f64 v[8:9], v[12:13], v[6:7]
	v_fma_f64 v[8:9], v[10:11], v[4:5], v[8:9]
	v_mul_f64 v[4:5], v[12:13], v[4:5]
	v_fma_f64 v[10:11], v[10:11], v[6:7], -v[4:5]
	ds_read_b128 v[4:7], v52 offset:12960
	;; [unrolled: 11-line block ×16, first 2 shown]
	s_clause 0x3
	buffer_load_dword v71, off, s[36:39], 0 offset:312
	buffer_load_dword v72, off, s[36:39], 0 offset:316
	;; [unrolled: 1-line block ×4, first 2 shown]
	s_waitcnt vmcnt(0) lgkmcnt(0)
	v_mul_f64 v[69:70], v[73:74], v[6:7]
	v_fma_f64 v[69:70], v[71:72], v[4:5], v[69:70]
	v_mul_f64 v[4:5], v[73:74], v[4:5]
	v_fma_f64 v[71:72], v[71:72], v[6:7], -v[4:5]
	s_clause 0x2
	buffer_load_dword v6, off, s[36:39], 0
	buffer_load_dword v7, off, s[36:39], 0 offset:4
	buffer_load_dword v73, off, s[36:39], 0 offset:884
	s_waitcnt vmcnt(2)
	v_mad_u64_u32 v[4:5], null, s2, v6, 0
	v_mad_u64_u32 v[5:6], null, s3, v6, v[5:6]
	s_load_dwordx2 s[2:3], s[4:5], 0x38
	s_waitcnt vmcnt(0)
	v_mad_u64_u32 v[6:7], null, s0, v73, 0
	s_mul_i32 s4, s1, 0x1950
	s_mul_hi_u32 s5, s0, 0x1950
	v_lshlrev_b64 v[4:5], 4, v[4:5]
	s_add_i32 s4, s5, s4
	s_mul_i32 s5, s0, 0x1950
	v_mad_u64_u32 v[73:74], null, s1, v73, v[7:8]
	s_mul_i32 s1, s1, 0xffff24a0
	s_sub_i32 s1, s1, s0
	v_mov_b32_e32 v7, v73
	s_waitcnt lgkmcnt(0)
	v_add_co_u32 v73, vcc_lo, s2, v4
	v_add_co_ci_u32_e32 v74, vcc_lo, s3, v5, vcc_lo
	s_mov_b32 s2, 0xc0898b71
	s_mov_b32 s3, 0x3f302e85
	v_lshlrev_b64 v[4:5], 4, v[6:7]
	v_mul_f64 v[0:1], v[0:1], s[2:3]
	v_mul_f64 v[2:3], v[2:3], s[2:3]
	;; [unrolled: 1-line block ×4, first 2 shown]
	v_add_co_u32 v4, vcc_lo, v73, v4
	v_add_co_ci_u32_e32 v5, vcc_lo, v74, v5, vcc_lo
	global_store_dwordx4 v[4:5], v[0:3], off
	v_mul_f64 v[0:1], v[8:9], s[2:3]
	v_mul_f64 v[2:3], v[10:11], s[2:3]
	v_add_co_u32 v8, vcc_lo, v4, s5
	v_add_co_ci_u32_e32 v9, vcc_lo, s4, v5, vcc_lo
	v_mul_f64 v[4:5], v[16:17], s[2:3]
	v_mul_f64 v[10:11], v[22:23], s[2:3]
	;; [unrolled: 1-line block ×4, first 2 shown]
	global_store_dwordx4 v[8:9], v[0:3], off
	v_mul_f64 v[0:1], v[12:13], s[2:3]
	v_mul_f64 v[2:3], v[14:15], s[2:3]
	v_add_co_u32 v12, vcc_lo, v8, s5
	v_add_co_ci_u32_e32 v13, vcc_lo, s4, v9, vcc_lo
	v_mul_f64 v[8:9], v[20:21], s[2:3]
	v_add_co_u32 v20, vcc_lo, v12, s5
	v_add_co_ci_u32_e32 v21, vcc_lo, s4, v13, vcc_lo
	v_mul_f64 v[14:15], v[26:27], s[2:3]
	global_store_dwordx4 v[12:13], v[0:3], off
	v_mul_f64 v[12:13], v[24:25], s[2:3]
	v_add_co_u32 v24, vcc_lo, v20, s5
	v_add_co_ci_u32_e32 v25, vcc_lo, s4, v21, vcc_lo
	global_store_dwordx4 v[20:21], v[4:7], off
	ds_read_b128 v[0:3], v52 offset:47520
	ds_read_b128 v[4:7], v52 offset:54000
	global_store_dwordx4 v[24:25], v[8:11], off
	s_clause 0x3
	buffer_load_dword v8, off, s[36:39], 0 offset:264
	buffer_load_dword v9, off, s[36:39], 0 offset:268
	;; [unrolled: 1-line block ×4, first 2 shown]
	v_add_co_u32 v24, vcc_lo, v24, s5
	v_add_co_ci_u32_e32 v25, vcc_lo, s4, v25, vcc_lo
	v_mul_f64 v[20:21], v[32:33], s[2:3]
	v_add_co_u32 v30, vcc_lo, v24, s5
	v_add_co_ci_u32_e32 v31, vcc_lo, s4, v25, vcc_lo
	v_add_co_u32 v32, vcc_lo, v30, s5
	global_store_dwordx4 v[24:25], v[12:15], off
	global_store_dwordx4 v[30:31], v[16:19], off
	ds_read_b128 v[12:15], v52 offset:4320
	ds_read_b128 v[16:19], v52 offset:60480
	v_add_co_ci_u32_e32 v33, vcc_lo, s4, v31, vcc_lo
	v_add_co_u32 v30, vcc_lo, v32, s5
	v_add_co_ci_u32_e32 v31, vcc_lo, s4, v33, vcc_lo
	s_waitcnt vmcnt(0) lgkmcnt(3)
	v_mul_f64 v[26:27], v[10:11], v[2:3]
	v_mul_f64 v[28:29], v[10:11], v[0:1]
	v_mov_b32_e32 v35, v9
	v_mov_b32_e32 v34, v8
	v_mul_f64 v[8:9], v[36:37], s[2:3]
	v_mul_f64 v[10:11], v[38:39], s[2:3]
	v_add_co_u32 v38, vcc_lo, v30, s5
	v_add_co_ci_u32_e32 v39, vcc_lo, s4, v31, vcc_lo
	v_fma_f64 v[73:74], v[34:35], v[0:1], v[26:27]
	v_fma_f64 v[75:76], v[34:35], v[2:3], -v[28:29]
	s_clause 0x3
	buffer_load_dword v0, off, s[36:39], 0 offset:184
	buffer_load_dword v1, off, s[36:39], 0 offset:188
	;; [unrolled: 1-line block ×4, first 2 shown]
	global_store_dwordx4 v[32:33], v[20:23], off
	ds_read_b128 v[24:27], v52 offset:17280
	global_store_dwordx4 v[30:31], v[8:11], off
	ds_read_b128 v[20:23], v52 offset:30240
	s_clause 0x3
	buffer_load_dword v8, off, s[36:39], 0 offset:168
	buffer_load_dword v9, off, s[36:39], 0 offset:172
	;; [unrolled: 1-line block ×4, first 2 shown]
	v_mul_f64 v[28:29], v[48:49], s[2:3]
	v_mul_f64 v[30:31], v[50:51], s[2:3]
	;; [unrolled: 1-line block ×3, first 2 shown]
	s_waitcnt vmcnt(6)
	v_mov_b32_e32 v80, v1
	s_waitcnt vmcnt(4) lgkmcnt(4)
	v_mul_f64 v[34:35], v[2:3], v[6:7]
	v_mul_f64 v[36:37], v[2:3], v[4:5]
	v_mov_b32_e32 v79, v0
	v_mul_f64 v[0:1], v[40:41], s[2:3]
	v_mul_f64 v[2:3], v[42:43], s[2:3]
	s_waitcnt vmcnt(2)
	v_mov_b32_e32 v84, v9
	s_waitcnt vmcnt(0) lgkmcnt(2)
	v_mul_f64 v[40:41], v[10:11], v[18:19]
	v_mul_f64 v[42:43], v[10:11], v[16:17]
	v_mov_b32_e32 v83, v8
	v_mul_f64 v[8:9], v[44:45], s[2:3]
	v_mul_f64 v[10:11], v[46:47], s[2:3]
	v_mad_u64_u32 v[44:45], null, 0xffff24a0, s0, v[38:39]
	v_add_nc_u32_e32 v45, s1, v45
	v_fma_f64 v[77:78], v[79:80], v[4:5], v[34:35]
	v_fma_f64 v[79:80], v[79:80], v[6:7], -v[36:37]
	ds_read_b128 v[4:7], v52 offset:43200
	ds_read_b128 v[32:35], v52 offset:10800
	global_store_dwordx4 v[38:39], v[0:3], off
	s_clause 0x3
	buffer_load_dword v0, off, s[36:39], 0 offset:152
	buffer_load_dword v1, off, s[36:39], 0 offset:156
	;; [unrolled: 1-line block ×4, first 2 shown]
	v_add_co_u32 v36, vcc_lo, v44, s5
	v_add_co_ci_u32_e32 v37, vcc_lo, s4, v45, vcc_lo
	v_fma_f64 v[81:82], v[83:84], v[16:17], v[40:41]
	v_fma_f64 v[83:84], v[83:84], v[18:19], -v[42:43]
	v_add_co_u32 v85, vcc_lo, v36, s5
	v_add_co_ci_u32_e32 v86, vcc_lo, s4, v37, vcc_lo
	v_add_co_u32 v91, vcc_lo, v85, s5
	v_add_co_ci_u32_e32 v92, vcc_lo, s4, v86, vcc_lo
	s_waitcnt vmcnt(2)
	v_mov_b32_e32 v49, v1
	s_waitcnt vmcnt(0)
	v_mul_f64 v[38:39], v[2:3], v[14:15]
	v_mul_f64 v[46:47], v[2:3], v[12:13]
	v_mov_b32_e32 v48, v0
	ds_read_b128 v[0:3], v52 offset:56160
	ds_read_b128 v[16:19], v52 offset:23760
	global_store_dwordx4 v[44:45], v[8:11], off
	global_store_dwordx4 v[36:37], v[28:31], off
	ds_read_b128 v[8:11], v52 offset:36720
	s_clause 0x3
	buffer_load_dword v40, off, s[36:39], 0 offset:120
	buffer_load_dword v41, off, s[36:39], 0 offset:124
	;; [unrolled: 1-line block ×4, first 2 shown]
	v_mul_f64 v[28:29], v[53:54], s[2:3]
	v_mul_f64 v[30:31], v[55:56], s[2:3]
	;; [unrolled: 1-line block ×4, first 2 shown]
	v_fma_f64 v[87:88], v[48:49], v[12:13], v[38:39]
	v_fma_f64 v[89:90], v[48:49], v[14:15], -v[46:47]
	ds_read_b128 v[12:15], v52 offset:49680
	v_mul_f64 v[46:47], v[67:68], s[2:3]
	v_mul_f64 v[38:39], v[59:60], s[2:3]
	v_mul_f64 v[48:49], v[69:70], s[2:3]
	v_mul_f64 v[59:60], v[83:84], s[2:3]
	s_waitcnt vmcnt(0) lgkmcnt(4)
	v_mul_f64 v[53:54], v[42:43], v[34:35]
	v_mul_f64 v[55:56], v[42:43], v[32:33]
	v_mov_b32_e32 v58, v41
	v_mov_b32_e32 v57, v40
	v_mul_f64 v[40:41], v[61:62], s[2:3]
	v_mul_f64 v[42:43], v[63:64], s[2:3]
	v_add_co_u32 v61, vcc_lo, v91, s5
	v_add_co_ci_u32_e32 v62, vcc_lo, s4, v92, vcc_lo
	v_add_co_u32 v63, vcc_lo, v61, s5
	v_add_co_ci_u32_e32 v64, vcc_lo, s4, v62, vcc_lo
	;; [unrolled: 2-line block ×3, first 2 shown]
	v_add_co_u32 v71, vcc_lo, v69, s5
	v_fma_f64 v[65:66], v[57:58], v[32:33], v[53:54]
	v_fma_f64 v[67:68], v[57:58], v[34:35], -v[55:56]
	v_mul_f64 v[55:56], v[79:80], s[2:3]
	v_mul_f64 v[57:58], v[81:82], s[2:3]
	s_clause 0x3
	buffer_load_dword v79, off, s[36:39], 0 offset:104
	buffer_load_dword v80, off, s[36:39], 0 offset:108
	;; [unrolled: 1-line block ×4, first 2 shown]
	global_store_dwordx4 v[85:86], v[28:31], off
	global_store_dwordx4 v[91:92], v[36:39], off
	;; [unrolled: 1-line block ×3, first 2 shown]
	v_mul_f64 v[32:33], v[73:74], s[2:3]
	v_mul_f64 v[34:35], v[75:76], s[2:3]
	ds_read_b128 v[28:31], v52 offset:62640
	s_clause 0x3
	buffer_load_dword v36, off, s[36:39], 0 offset:8
	buffer_load_dword v37, off, s[36:39], 0 offset:12
	;; [unrolled: 1-line block ×4, first 2 shown]
	v_mul_f64 v[53:54], v[77:78], s[2:3]
	v_add_co_ci_u32_e32 v72, vcc_lo, s4, v70, vcc_lo
	v_add_co_u32 v73, vcc_lo, v71, s5
	v_add_co_ci_u32_e32 v74, vcc_lo, s4, v72, vcc_lo
	s_waitcnt vmcnt(4)
	v_mul_f64 v[75:76], v[81:82], v[26:27]
	v_mul_f64 v[77:78], v[81:82], v[24:25]
	v_mov_b32_e32 v82, v80
	v_mov_b32_e32 v81, v79
	v_add_co_u32 v79, vcc_lo, v73, s5
	v_add_co_ci_u32_e32 v80, vcc_lo, s4, v74, vcc_lo
	global_store_dwordx4 v[63:64], v[44:47], off
	global_store_dwordx4 v[69:70], v[48:51], off
	;; [unrolled: 1-line block ×5, first 2 shown]
	s_clause 0x7
	buffer_load_dword v48, off, s[36:39], 0 offset:24
	buffer_load_dword v49, off, s[36:39], 0 offset:28
	;; [unrolled: 1-line block ×8, first 2 shown]
	s_waitcnt vmcnt(8) lgkmcnt(3)
	v_mul_f64 v[42:43], v[38:39], v[18:19]
	v_mul_f64 v[61:62], v[38:39], v[16:17]
	v_mov_b32_e32 v84, v37
	v_mov_b32_e32 v83, v36
	v_mad_u64_u32 v[40:41], null, 0xffff24a0, s0, v[79:80]
	v_mul_f64 v[36:37], v[65:66], s[2:3]
	v_mul_f64 v[38:39], v[67:68], s[2:3]
	;; [unrolled: 1-line block ×4, first 2 shown]
	v_fma_f64 v[24:25], v[81:82], v[24:25], v[75:76]
	v_fma_f64 v[26:27], v[81:82], v[26:27], -v[77:78]
	v_add_nc_u32_e32 v41, s1, v41
	v_fma_f64 v[42:43], v[83:84], v[16:17], v[42:43]
	s_waitcnt vmcnt(4)
	v_mul_f64 v[44:45], v[50:51], v[22:23]
	s_waitcnt vmcnt(2)
	v_mov_b32_e32 v75, v55
	v_mov_b32_e32 v74, v54
	v_fma_f64 v[54:55], v[83:84], v[18:19], -v[61:62]
	s_clause 0x3
	buffer_load_dword v16, off, s[36:39], 0 offset:56
	buffer_load_dword v17, off, s[36:39], 0 offset:60
	;; [unrolled: 1-line block ×4, first 2 shown]
	v_mul_f64 v[46:47], v[50:51], v[20:21]
	s_waitcnt vmcnt(4) lgkmcnt(2)
	v_mul_f64 v[50:51], v[56:57], v[10:11]
	v_mul_f64 v[52:53], v[56:57], v[8:9]
	v_mov_b32_e32 v73, v49
	v_mov_b32_e32 v72, v48
	v_add_co_u32 v48, vcc_lo, v40, s5
	v_add_co_ci_u32_e32 v49, vcc_lo, s4, v41, vcc_lo
	v_fma_f64 v[20:21], v[72:73], v[20:21], v[44:45]
	v_fma_f64 v[22:23], v[72:73], v[22:23], -v[46:47]
	s_waitcnt vmcnt(2)
	v_mov_b32_e32 v77, v17
	s_waitcnt vmcnt(0)
	v_mul_f64 v[56:57], v[18:19], v[6:7]
	v_mul_f64 v[58:59], v[18:19], v[4:5]
	v_mov_b32_e32 v76, v16
	s_clause 0x3
	buffer_load_dword v16, off, s[36:39], 0 offset:72
	buffer_load_dword v17, off, s[36:39], 0 offset:76
	;; [unrolled: 1-line block ×4, first 2 shown]
	s_waitcnt vmcnt(2)
	v_mov_b32_e32 v79, v17
	s_waitcnt vmcnt(0) lgkmcnt(1)
	v_mul_f64 v[60:61], v[18:19], v[14:15]
	v_mul_f64 v[62:63], v[18:19], v[12:13]
	v_mov_b32_e32 v78, v16
	s_clause 0x3
	buffer_load_dword v16, off, s[36:39], 0 offset:88
	buffer_load_dword v17, off, s[36:39], 0 offset:92
	;; [unrolled: 1-line block ×4, first 2 shown]
	s_waitcnt vmcnt(2)
	v_mov_b32_e32 v81, v17
	s_waitcnt vmcnt(0)
	v_mul_f64 v[64:65], v[18:19], v[2:3]
	v_mul_f64 v[66:67], v[18:19], v[0:1]
	v_mov_b32_e32 v80, v16
	s_clause 0x3
	buffer_load_dword v16, off, s[36:39], 0 offset:136
	buffer_load_dword v17, off, s[36:39], 0 offset:140
	;; [unrolled: 1-line block ×4, first 2 shown]
	global_store_dwordx4 v[40:41], v[32:35], off
	global_store_dwordx4 v[48:49], v[36:39], off
	v_fma_f64 v[34:35], v[76:77], v[4:5], v[56:57]
	v_fma_f64 v[36:37], v[76:77], v[6:7], -v[58:59]
	v_fma_f64 v[38:39], v[78:79], v[12:13], v[60:61]
	v_fma_f64 v[40:41], v[78:79], v[14:15], -v[62:63]
	v_add_co_u32 v32, vcc_lo, v48, s5
	v_add_co_ci_u32_e32 v33, vcc_lo, s4, v49, vcc_lo
	v_add_co_u32 v46, vcc_lo, v32, s5
	v_add_co_ci_u32_e32 v47, vcc_lo, s4, v33, vcc_lo
	;; [unrolled: 2-line block ×3, first 2 shown]
	v_fma_f64 v[44:45], v[80:81], v[2:3], -v[66:67]
	v_mul_f64 v[2:3], v[22:23], s[2:3]
	v_mul_f64 v[12:13], v[34:35], s[2:3]
	v_mul_f64 v[14:15], v[36:37], s[2:3]
	v_mul_f64 v[22:23], v[40:41], s[2:3]
	s_waitcnt vmcnt(0) lgkmcnt(0)
	v_mul_f64 v[68:69], v[18:19], v[30:31]
	v_mul_f64 v[70:71], v[18:19], v[28:29]
	v_mov_b32_e32 v83, v17
	v_mov_b32_e32 v82, v16
	v_mul_f64 v[16:17], v[24:25], s[2:3]
	v_mul_f64 v[18:19], v[26:27], s[2:3]
	v_fma_f64 v[24:25], v[74:75], v[8:9], v[50:51]
	v_fma_f64 v[26:27], v[74:75], v[10:11], -v[52:53]
	v_mul_f64 v[8:9], v[42:43], s[2:3]
	v_fma_f64 v[42:43], v[80:81], v[0:1], v[64:65]
	v_mul_f64 v[10:11], v[54:55], s[2:3]
	v_mul_f64 v[0:1], v[20:21], s[2:3]
	v_add_co_u32 v50, vcc_lo, v48, s5
	v_add_co_ci_u32_e32 v51, vcc_lo, s4, v49, vcc_lo
	v_mul_f64 v[20:21], v[38:39], s[2:3]
	v_add_co_u32 v34, vcc_lo, v50, s5
	v_add_co_ci_u32_e32 v35, vcc_lo, s4, v51, vcc_lo
	v_fma_f64 v[28:29], v[82:83], v[28:29], v[68:69]
	v_fma_f64 v[30:31], v[82:83], v[30:31], -v[70:71]
	global_store_dwordx4 v[32:33], v[16:19], off
	v_mul_f64 v[4:5], v[24:25], s[2:3]
	v_mul_f64 v[6:7], v[26:27], s[2:3]
	;; [unrolled: 1-line block ×4, first 2 shown]
	v_add_co_u32 v16, vcc_lo, v34, s5
	v_add_co_ci_u32_e32 v17, vcc_lo, s4, v35, vcc_lo
	global_store_dwordx4 v[46:47], v[8:11], off
	v_add_co_u32 v8, vcc_lo, v16, s5
	v_add_co_ci_u32_e32 v9, vcc_lo, s4, v17, vcc_lo
	global_store_dwordx4 v[48:49], v[0:3], off
	v_add_co_u32 v0, vcc_lo, v8, s5
	v_mul_f64 v[28:29], v[28:29], s[2:3]
	v_mul_f64 v[30:31], v[30:31], s[2:3]
	v_add_co_ci_u32_e32 v1, vcc_lo, s4, v9, vcc_lo
	global_store_dwordx4 v[50:51], v[4:7], off
	global_store_dwordx4 v[34:35], v[12:15], off
	;; [unrolled: 1-line block ×5, first 2 shown]
.LBB0_2:
	s_endpgm
	.section	.rodata,"a",@progbits
	.p2align	6, 0x0
	.amdhsa_kernel bluestein_single_fwd_len4050_dim1_dp_op_CI_CI
		.amdhsa_group_segment_fixed_size 64800
		.amdhsa_private_segment_fixed_size 1852
		.amdhsa_kernarg_size 104
		.amdhsa_user_sgpr_count 6
		.amdhsa_user_sgpr_private_segment_buffer 1
		.amdhsa_user_sgpr_dispatch_ptr 0
		.amdhsa_user_sgpr_queue_ptr 0
		.amdhsa_user_sgpr_kernarg_segment_ptr 1
		.amdhsa_user_sgpr_dispatch_id 0
		.amdhsa_user_sgpr_flat_scratch_init 0
		.amdhsa_user_sgpr_private_segment_size 0
		.amdhsa_wavefront_size32 1
		.amdhsa_uses_dynamic_stack 0
		.amdhsa_system_sgpr_private_segment_wavefront_offset 1
		.amdhsa_system_sgpr_workgroup_id_x 1
		.amdhsa_system_sgpr_workgroup_id_y 0
		.amdhsa_system_sgpr_workgroup_id_z 0
		.amdhsa_system_sgpr_workgroup_info 0
		.amdhsa_system_vgpr_workitem_id 0
		.amdhsa_next_free_vgpr 256
		.amdhsa_next_free_sgpr 40
		.amdhsa_reserve_vcc 1
		.amdhsa_reserve_flat_scratch 0
		.amdhsa_float_round_mode_32 0
		.amdhsa_float_round_mode_16_64 0
		.amdhsa_float_denorm_mode_32 3
		.amdhsa_float_denorm_mode_16_64 3
		.amdhsa_dx10_clamp 1
		.amdhsa_ieee_mode 1
		.amdhsa_fp16_overflow 0
		.amdhsa_workgroup_processor_mode 1
		.amdhsa_memory_ordered 1
		.amdhsa_forward_progress 0
		.amdhsa_shared_vgpr_count 0
		.amdhsa_exception_fp_ieee_invalid_op 0
		.amdhsa_exception_fp_denorm_src 0
		.amdhsa_exception_fp_ieee_div_zero 0
		.amdhsa_exception_fp_ieee_overflow 0
		.amdhsa_exception_fp_ieee_underflow 0
		.amdhsa_exception_fp_ieee_inexact 0
		.amdhsa_exception_int_div_zero 0
	.end_amdhsa_kernel
	.text
.Lfunc_end0:
	.size	bluestein_single_fwd_len4050_dim1_dp_op_CI_CI, .Lfunc_end0-bluestein_single_fwd_len4050_dim1_dp_op_CI_CI
                                        ; -- End function
	.section	.AMDGPU.csdata,"",@progbits
; Kernel info:
; codeLenInByte = 56336
; NumSgprs: 42
; NumVgprs: 256
; ScratchSize: 1852
; MemoryBound: 0
; FloatMode: 240
; IeeeMode: 1
; LDSByteSize: 64800 bytes/workgroup (compile time only)
; SGPRBlocks: 5
; VGPRBlocks: 31
; NumSGPRsForWavesPerEU: 42
; NumVGPRsForWavesPerEU: 256
; Occupancy: 3
; WaveLimiterHint : 1
; COMPUTE_PGM_RSRC2:SCRATCH_EN: 1
; COMPUTE_PGM_RSRC2:USER_SGPR: 6
; COMPUTE_PGM_RSRC2:TRAP_HANDLER: 0
; COMPUTE_PGM_RSRC2:TGID_X_EN: 1
; COMPUTE_PGM_RSRC2:TGID_Y_EN: 0
; COMPUTE_PGM_RSRC2:TGID_Z_EN: 0
; COMPUTE_PGM_RSRC2:TIDIG_COMP_CNT: 0
	.text
	.p2alignl 6, 3214868480
	.fill 48, 4, 3214868480
	.type	__hip_cuid_3c0d20d6bf1c1ea6,@object ; @__hip_cuid_3c0d20d6bf1c1ea6
	.section	.bss,"aw",@nobits
	.globl	__hip_cuid_3c0d20d6bf1c1ea6
__hip_cuid_3c0d20d6bf1c1ea6:
	.byte	0                               ; 0x0
	.size	__hip_cuid_3c0d20d6bf1c1ea6, 1

	.ident	"AMD clang version 19.0.0git (https://github.com/RadeonOpenCompute/llvm-project roc-6.4.0 25133 c7fe45cf4b819c5991fe208aaa96edf142730f1d)"
	.section	".note.GNU-stack","",@progbits
	.addrsig
	.addrsig_sym __hip_cuid_3c0d20d6bf1c1ea6
	.amdgpu_metadata
---
amdhsa.kernels:
  - .args:
      - .actual_access:  read_only
        .address_space:  global
        .offset:         0
        .size:           8
        .value_kind:     global_buffer
      - .actual_access:  read_only
        .address_space:  global
        .offset:         8
        .size:           8
        .value_kind:     global_buffer
      - .actual_access:  read_only
        .address_space:  global
        .offset:         16
        .size:           8
        .value_kind:     global_buffer
      - .actual_access:  read_only
        .address_space:  global
        .offset:         24
        .size:           8
        .value_kind:     global_buffer
      - .actual_access:  read_only
        .address_space:  global
        .offset:         32
        .size:           8
        .value_kind:     global_buffer
      - .offset:         40
        .size:           8
        .value_kind:     by_value
      - .address_space:  global
        .offset:         48
        .size:           8
        .value_kind:     global_buffer
      - .address_space:  global
        .offset:         56
        .size:           8
        .value_kind:     global_buffer
      - .address_space:  global
        .offset:         64
        .size:           8
        .value_kind:     global_buffer
      - .address_space:  global
        .offset:         72
        .size:           8
        .value_kind:     global_buffer
      - .offset:         80
        .size:           4
        .value_kind:     by_value
      - .address_space:  global
        .offset:         88
        .size:           8
        .value_kind:     global_buffer
      - .address_space:  global
        .offset:         96
        .size:           8
        .value_kind:     global_buffer
    .group_segment_fixed_size: 64800
    .kernarg_segment_align: 8
    .kernarg_segment_size: 104
    .language:       OpenCL C
    .language_version:
      - 2
      - 0
    .max_flat_workgroup_size: 135
    .name:           bluestein_single_fwd_len4050_dim1_dp_op_CI_CI
    .private_segment_fixed_size: 1852
    .sgpr_count:     42
    .sgpr_spill_count: 0
    .symbol:         bluestein_single_fwd_len4050_dim1_dp_op_CI_CI.kd
    .uniform_work_group_size: 1
    .uses_dynamic_stack: false
    .vgpr_count:     256
    .vgpr_spill_count: 462
    .wavefront_size: 32
    .workgroup_processor_mode: 1
amdhsa.target:   amdgcn-amd-amdhsa--gfx1030
amdhsa.version:
  - 1
  - 2
...

	.end_amdgpu_metadata
